;; amdgpu-corpus repo=ROCm/rocFFT kind=compiled arch=gfx1201 opt=O3
	.text
	.amdgcn_target "amdgcn-amd-amdhsa--gfx1201"
	.amdhsa_code_object_version 6
	.protected	fft_rtc_back_len1078_factors_2_11_7_7_wgs_231_tpt_77_halfLds_half_op_CI_CI_sbrr_dirReg ; -- Begin function fft_rtc_back_len1078_factors_2_11_7_7_wgs_231_tpt_77_halfLds_half_op_CI_CI_sbrr_dirReg
	.globl	fft_rtc_back_len1078_factors_2_11_7_7_wgs_231_tpt_77_halfLds_half_op_CI_CI_sbrr_dirReg
	.p2align	8
	.type	fft_rtc_back_len1078_factors_2_11_7_7_wgs_231_tpt_77_halfLds_half_op_CI_CI_sbrr_dirReg,@function
fft_rtc_back_len1078_factors_2_11_7_7_wgs_231_tpt_77_halfLds_half_op_CI_CI_sbrr_dirReg: ; @fft_rtc_back_len1078_factors_2_11_7_7_wgs_231_tpt_77_halfLds_half_op_CI_CI_sbrr_dirReg
; %bb.0:
	s_clause 0x1
	s_load_b128 s[12:15], s[0:1], 0x18
	s_load_b128 s[8:11], s[0:1], 0x0
	v_mul_u32_u24_e32 v1, 0x354, v0
	v_mov_b32_e32 v5, 0
	v_mov_b32_e32 v3, 0
	v_mov_b32_e32 v4, 0
	s_load_b128 s[4:7], s[0:1], 0x58
	s_wait_kmcnt 0x0
	s_load_b64 s[18:19], s[12:13], 0x0
	s_load_b64 s[16:17], s[14:15], 0x0
	v_lshrrev_b32_e32 v1, 16, v1
	v_cmp_lt_u64_e64 s2, s[10:11], 2
	v_dual_mov_b32 v17, v4 :: v_dual_mov_b32 v16, v3
	s_delay_alu instid0(VALU_DEP_3) | instskip(SKIP_1) | instid1(VALU_DEP_4)
	v_mad_co_u64_u32 v[1:2], null, ttmp9, 3, v[1:2]
	v_mov_b32_e32 v2, v5
	s_and_b32 vcc_lo, exec_lo, s2
	s_delay_alu instid0(VALU_DEP_1)
	v_dual_mov_b32 v19, v2 :: v_dual_mov_b32 v18, v1
	s_cbranch_vccnz .LBB0_8
; %bb.1:
	s_load_b64 s[2:3], s[0:1], 0x10
	v_dual_mov_b32 v3, 0 :: v_dual_mov_b32 v8, v2
	v_dual_mov_b32 v4, 0 :: v_dual_mov_b32 v7, v1
	s_add_nc_u64 s[20:21], s[14:15], 8
	s_add_nc_u64 s[22:23], s[12:13], 8
	s_mov_b64 s[24:25], 1
	s_delay_alu instid0(VALU_DEP_1)
	v_dual_mov_b32 v17, v4 :: v_dual_mov_b32 v16, v3
	s_wait_kmcnt 0x0
	s_add_nc_u64 s[26:27], s[2:3], 8
	s_mov_b32 s3, 0
.LBB0_2:                                ; =>This Inner Loop Header: Depth=1
	s_load_b64 s[28:29], s[26:27], 0x0
                                        ; implicit-def: $vgpr18_vgpr19
	s_mov_b32 s2, exec_lo
	s_wait_kmcnt 0x0
	v_or_b32_e32 v6, s29, v8
	s_delay_alu instid0(VALU_DEP_1)
	v_cmpx_ne_u64_e32 0, v[5:6]
	s_wait_alu 0xfffe
	s_xor_b32 s30, exec_lo, s2
	s_cbranch_execz .LBB0_4
; %bb.3:                                ;   in Loop: Header=BB0_2 Depth=1
	s_cvt_f32_u32 s2, s28
	s_cvt_f32_u32 s31, s29
	s_sub_nc_u64 s[36:37], 0, s[28:29]
	s_wait_alu 0xfffe
	s_delay_alu instid0(SALU_CYCLE_1) | instskip(SKIP_1) | instid1(SALU_CYCLE_2)
	s_fmamk_f32 s2, s31, 0x4f800000, s2
	s_wait_alu 0xfffe
	v_s_rcp_f32 s2, s2
	s_delay_alu instid0(TRANS32_DEP_1) | instskip(SKIP_1) | instid1(SALU_CYCLE_2)
	s_mul_f32 s2, s2, 0x5f7ffffc
	s_wait_alu 0xfffe
	s_mul_f32 s31, s2, 0x2f800000
	s_wait_alu 0xfffe
	s_delay_alu instid0(SALU_CYCLE_2) | instskip(SKIP_1) | instid1(SALU_CYCLE_2)
	s_trunc_f32 s31, s31
	s_wait_alu 0xfffe
	s_fmamk_f32 s2, s31, 0xcf800000, s2
	s_cvt_u32_f32 s35, s31
	s_wait_alu 0xfffe
	s_delay_alu instid0(SALU_CYCLE_1) | instskip(SKIP_1) | instid1(SALU_CYCLE_2)
	s_cvt_u32_f32 s34, s2
	s_wait_alu 0xfffe
	s_mul_u64 s[38:39], s[36:37], s[34:35]
	s_wait_alu 0xfffe
	s_mul_hi_u32 s41, s34, s39
	s_mul_i32 s40, s34, s39
	s_mul_hi_u32 s2, s34, s38
	s_mul_i32 s33, s35, s38
	s_wait_alu 0xfffe
	s_add_nc_u64 s[40:41], s[2:3], s[40:41]
	s_mul_hi_u32 s31, s35, s38
	s_mul_hi_u32 s42, s35, s39
	s_add_co_u32 s2, s40, s33
	s_wait_alu 0xfffe
	s_add_co_ci_u32 s2, s41, s31
	s_mul_i32 s38, s35, s39
	s_add_co_ci_u32 s39, s42, 0
	s_wait_alu 0xfffe
	s_add_nc_u64 s[38:39], s[2:3], s[38:39]
	s_wait_alu 0xfffe
	v_add_co_u32 v2, s2, s34, s38
	s_delay_alu instid0(VALU_DEP_1) | instskip(SKIP_1) | instid1(VALU_DEP_1)
	s_cmp_lg_u32 s2, 0
	s_add_co_ci_u32 s35, s35, s39
	v_readfirstlane_b32 s34, v2
	s_wait_alu 0xfffe
	s_delay_alu instid0(VALU_DEP_1)
	s_mul_u64 s[36:37], s[36:37], s[34:35]
	s_wait_alu 0xfffe
	s_mul_hi_u32 s39, s34, s37
	s_mul_i32 s38, s34, s37
	s_mul_hi_u32 s2, s34, s36
	s_mul_i32 s33, s35, s36
	s_wait_alu 0xfffe
	s_add_nc_u64 s[38:39], s[2:3], s[38:39]
	s_mul_hi_u32 s31, s35, s36
	s_mul_hi_u32 s34, s35, s37
	s_wait_alu 0xfffe
	s_add_co_u32 s2, s38, s33
	s_add_co_ci_u32 s2, s39, s31
	s_mul_i32 s36, s35, s37
	s_add_co_ci_u32 s37, s34, 0
	s_wait_alu 0xfffe
	s_add_nc_u64 s[36:37], s[2:3], s[36:37]
	s_wait_alu 0xfffe
	v_add_co_u32 v2, s2, v2, s36
	s_delay_alu instid0(VALU_DEP_1) | instskip(SKIP_1) | instid1(VALU_DEP_1)
	s_cmp_lg_u32 s2, 0
	s_add_co_ci_u32 s2, s35, s37
	v_mul_hi_u32 v6, v7, v2
	s_wait_alu 0xfffe
	v_mad_co_u64_u32 v[9:10], null, v7, s2, 0
	v_mad_co_u64_u32 v[11:12], null, v8, v2, 0
	;; [unrolled: 1-line block ×3, first 2 shown]
	s_delay_alu instid0(VALU_DEP_3) | instskip(SKIP_1) | instid1(VALU_DEP_4)
	v_add_co_u32 v2, vcc_lo, v6, v9
	s_wait_alu 0xfffd
	v_add_co_ci_u32_e32 v6, vcc_lo, 0, v10, vcc_lo
	s_delay_alu instid0(VALU_DEP_2) | instskip(SKIP_1) | instid1(VALU_DEP_2)
	v_add_co_u32 v2, vcc_lo, v2, v11
	s_wait_alu 0xfffd
	v_add_co_ci_u32_e32 v2, vcc_lo, v6, v12, vcc_lo
	s_wait_alu 0xfffd
	v_add_co_ci_u32_e32 v6, vcc_lo, 0, v14, vcc_lo
	s_delay_alu instid0(VALU_DEP_2) | instskip(SKIP_1) | instid1(VALU_DEP_2)
	v_add_co_u32 v2, vcc_lo, v2, v13
	s_wait_alu 0xfffd
	v_add_co_ci_u32_e32 v6, vcc_lo, 0, v6, vcc_lo
	s_delay_alu instid0(VALU_DEP_2) | instskip(SKIP_1) | instid1(VALU_DEP_3)
	v_mul_lo_u32 v11, s29, v2
	v_mad_co_u64_u32 v[9:10], null, s28, v2, 0
	v_mul_lo_u32 v12, s28, v6
	s_delay_alu instid0(VALU_DEP_2) | instskip(NEXT) | instid1(VALU_DEP_2)
	v_sub_co_u32 v9, vcc_lo, v7, v9
	v_add3_u32 v10, v10, v12, v11
	s_delay_alu instid0(VALU_DEP_1) | instskip(SKIP_1) | instid1(VALU_DEP_1)
	v_sub_nc_u32_e32 v11, v8, v10
	s_wait_alu 0xfffd
	v_subrev_co_ci_u32_e64 v11, s2, s29, v11, vcc_lo
	v_add_co_u32 v12, s2, v2, 2
	s_wait_alu 0xf1ff
	v_add_co_ci_u32_e64 v13, s2, 0, v6, s2
	v_sub_co_u32 v14, s2, v9, s28
	v_sub_co_ci_u32_e32 v10, vcc_lo, v8, v10, vcc_lo
	s_wait_alu 0xf1ff
	v_subrev_co_ci_u32_e64 v11, s2, 0, v11, s2
	s_delay_alu instid0(VALU_DEP_3) | instskip(NEXT) | instid1(VALU_DEP_3)
	v_cmp_le_u32_e32 vcc_lo, s28, v14
	v_cmp_eq_u32_e64 s2, s29, v10
	s_wait_alu 0xfffd
	v_cndmask_b32_e64 v14, 0, -1, vcc_lo
	v_cmp_le_u32_e32 vcc_lo, s29, v11
	s_wait_alu 0xfffd
	v_cndmask_b32_e64 v15, 0, -1, vcc_lo
	v_cmp_le_u32_e32 vcc_lo, s28, v9
	;; [unrolled: 3-line block ×3, first 2 shown]
	s_wait_alu 0xfffd
	v_cndmask_b32_e64 v18, 0, -1, vcc_lo
	v_cmp_eq_u32_e32 vcc_lo, s29, v11
	s_wait_alu 0xf1ff
	s_delay_alu instid0(VALU_DEP_2)
	v_cndmask_b32_e64 v9, v18, v9, s2
	s_wait_alu 0xfffd
	v_cndmask_b32_e32 v11, v15, v14, vcc_lo
	v_add_co_u32 v14, vcc_lo, v2, 1
	s_wait_alu 0xfffd
	v_add_co_ci_u32_e32 v15, vcc_lo, 0, v6, vcc_lo
	s_delay_alu instid0(VALU_DEP_3) | instskip(SKIP_1) | instid1(VALU_DEP_2)
	v_cmp_ne_u32_e32 vcc_lo, 0, v11
	s_wait_alu 0xfffd
	v_dual_cndmask_b32 v10, v15, v13 :: v_dual_cndmask_b32 v11, v14, v12
	v_cmp_ne_u32_e32 vcc_lo, 0, v9
	s_wait_alu 0xfffd
	s_delay_alu instid0(VALU_DEP_2) | instskip(NEXT) | instid1(VALU_DEP_3)
	v_cndmask_b32_e32 v19, v6, v10, vcc_lo
	v_cndmask_b32_e32 v18, v2, v11, vcc_lo
.LBB0_4:                                ;   in Loop: Header=BB0_2 Depth=1
	s_wait_alu 0xfffe
	s_and_not1_saveexec_b32 s2, s30
	s_cbranch_execz .LBB0_6
; %bb.5:                                ;   in Loop: Header=BB0_2 Depth=1
	v_cvt_f32_u32_e32 v2, s28
	s_sub_co_i32 s30, 0, s28
	v_mov_b32_e32 v19, v5
	s_delay_alu instid0(VALU_DEP_2) | instskip(NEXT) | instid1(TRANS32_DEP_1)
	v_rcp_iflag_f32_e32 v2, v2
	v_mul_f32_e32 v2, 0x4f7ffffe, v2
	s_delay_alu instid0(VALU_DEP_1) | instskip(SKIP_1) | instid1(VALU_DEP_1)
	v_cvt_u32_f32_e32 v2, v2
	s_wait_alu 0xfffe
	v_mul_lo_u32 v6, s30, v2
	s_delay_alu instid0(VALU_DEP_1) | instskip(NEXT) | instid1(VALU_DEP_1)
	v_mul_hi_u32 v6, v2, v6
	v_add_nc_u32_e32 v2, v2, v6
	s_delay_alu instid0(VALU_DEP_1) | instskip(NEXT) | instid1(VALU_DEP_1)
	v_mul_hi_u32 v2, v7, v2
	v_mul_lo_u32 v6, v2, s28
	v_add_nc_u32_e32 v9, 1, v2
	s_delay_alu instid0(VALU_DEP_2) | instskip(NEXT) | instid1(VALU_DEP_1)
	v_sub_nc_u32_e32 v6, v7, v6
	v_subrev_nc_u32_e32 v10, s28, v6
	v_cmp_le_u32_e32 vcc_lo, s28, v6
	s_wait_alu 0xfffd
	s_delay_alu instid0(VALU_DEP_2) | instskip(SKIP_1) | instid1(VALU_DEP_2)
	v_cndmask_b32_e32 v6, v6, v10, vcc_lo
	v_cndmask_b32_e32 v2, v2, v9, vcc_lo
	v_cmp_le_u32_e32 vcc_lo, s28, v6
	s_delay_alu instid0(VALU_DEP_2) | instskip(SKIP_1) | instid1(VALU_DEP_1)
	v_add_nc_u32_e32 v9, 1, v2
	s_wait_alu 0xfffd
	v_cndmask_b32_e32 v18, v2, v9, vcc_lo
.LBB0_6:                                ;   in Loop: Header=BB0_2 Depth=1
	s_wait_alu 0xfffe
	s_or_b32 exec_lo, exec_lo, s2
	v_mul_lo_u32 v2, v19, s28
	s_delay_alu instid0(VALU_DEP_2)
	v_mul_lo_u32 v6, v18, s29
	s_load_b64 s[30:31], s[22:23], 0x0
	v_mad_co_u64_u32 v[9:10], null, v18, s28, 0
	s_load_b64 s[28:29], s[20:21], 0x0
	s_add_nc_u64 s[24:25], s[24:25], 1
	s_add_nc_u64 s[20:21], s[20:21], 8
	s_wait_alu 0xfffe
	v_cmp_ge_u64_e64 s2, s[24:25], s[10:11]
	s_add_nc_u64 s[22:23], s[22:23], 8
	s_add_nc_u64 s[26:27], s[26:27], 8
	v_add3_u32 v2, v10, v6, v2
	v_sub_co_u32 v6, vcc_lo, v7, v9
	s_wait_alu 0xfffd
	s_delay_alu instid0(VALU_DEP_2) | instskip(SKIP_2) | instid1(VALU_DEP_1)
	v_sub_co_ci_u32_e32 v2, vcc_lo, v8, v2, vcc_lo
	s_and_b32 vcc_lo, exec_lo, s2
	s_wait_kmcnt 0x0
	v_mul_lo_u32 v7, s30, v2
	v_mul_lo_u32 v8, s31, v6
	v_mad_co_u64_u32 v[3:4], null, s30, v6, v[3:4]
	v_mul_lo_u32 v2, s28, v2
	v_mul_lo_u32 v9, s29, v6
	v_mad_co_u64_u32 v[16:17], null, s28, v6, v[16:17]
	s_delay_alu instid0(VALU_DEP_4) | instskip(NEXT) | instid1(VALU_DEP_2)
	v_add3_u32 v4, v8, v4, v7
	v_add3_u32 v17, v9, v17, v2
	s_wait_alu 0xfffe
	s_cbranch_vccnz .LBB0_8
; %bb.7:                                ;   in Loop: Header=BB0_2 Depth=1
	v_dual_mov_b32 v7, v18 :: v_dual_mov_b32 v8, v19
	s_branch .LBB0_2
.LBB0_8:
	s_load_b64 s[0:1], s[0:1], 0x28
	v_mul_hi_u32 v34, 0x3531ded, v0
	s_lshl_b64 s[10:11], s[10:11], 3
                                        ; implicit-def: $sgpr2
                                        ; implicit-def: $vgpr24
                                        ; implicit-def: $vgpr25
                                        ; implicit-def: $vgpr29
                                        ; implicit-def: $vgpr30
                                        ; implicit-def: $vgpr31
	s_wait_kmcnt 0x0
	v_cmp_gt_u64_e32 vcc_lo, s[0:1], v[18:19]
	v_cmp_le_u64_e64 s0, s[0:1], v[18:19]
	s_delay_alu instid0(VALU_DEP_1)
	s_and_saveexec_b32 s1, s0
	s_wait_alu 0xfffe
	s_xor_b32 s0, exec_lo, s1
; %bb.9:
	v_mul_u32_u24_e32 v2, 0x4d, v34
	s_mov_b32 s2, 0
                                        ; implicit-def: $vgpr34
                                        ; implicit-def: $vgpr3_vgpr4
	s_delay_alu instid0(VALU_DEP_1) | instskip(NEXT) | instid1(VALU_DEP_1)
	v_sub_nc_u32_e32 v24, v0, v2
                                        ; implicit-def: $vgpr0
	v_add_nc_u32_e32 v25, 0x4d, v24
	v_add_nc_u32_e32 v29, 0x9a, v24
	;; [unrolled: 1-line block ×4, first 2 shown]
; %bb.10:
	s_wait_alu 0xfffe
	s_or_saveexec_b32 s1, s0
	v_dual_mov_b32 v2, s2 :: v_dual_mov_b32 v5, s2
	v_dual_mov_b32 v10, s2 :: v_dual_mov_b32 v9, s2
	;; [unrolled: 1-line block ×3, first 2 shown]
	v_mov_b32_e32 v6, s2
	s_add_nc_u64 s[2:3], s[14:15], s[10:11]
                                        ; implicit-def: $vgpr21
                                        ; implicit-def: $vgpr13
                                        ; implicit-def: $vgpr22
                                        ; implicit-def: $vgpr15
                                        ; implicit-def: $vgpr11
                                        ; implicit-def: $vgpr26
                                        ; implicit-def: $vgpr12
                                        ; implicit-def: $vgpr27
                                        ; implicit-def: $vgpr14
                                        ; implicit-def: $vgpr28
                                        ; implicit-def: $vgpr20
                                        ; implicit-def: $vgpr32
                                        ; implicit-def: $vgpr23
                                        ; implicit-def: $vgpr33
	s_wait_alu 0xfffe
	s_xor_b32 exec_lo, exec_lo, s1
	s_cbranch_execz .LBB0_12
; %bb.11:
	s_add_nc_u64 s[10:11], s[12:13], s[10:11]
	v_mul_u32_u24_e32 v2, 0x4d, v34
	s_load_b64 s[10:11], s[10:11], 0x0
	s_delay_alu instid0(VALU_DEP_1) | instskip(SKIP_1) | instid1(VALU_DEP_2)
	v_sub_nc_u32_e32 v24, v0, v2
	v_lshlrev_b64_e32 v[2:3], 2, v[3:4]
	v_mad_co_u64_u32 v[4:5], null, s18, v24, 0
	v_add_nc_u32_e32 v25, 0x4d, v24
	v_add_nc_u32_e32 v26, 0x268, v24
	;; [unrolled: 1-line block ×4, first 2 shown]
	v_dual_mov_b32 v0, v5 :: v_dual_add_nc_u32 v31, 0x1ce, v24
	v_mad_co_u64_u32 v[8:9], null, s18, v25, 0
	v_add_nc_u32_e32 v22, 0x21b, v24
	s_wait_kmcnt 0x0
	v_mul_lo_u32 v5, s11, v18
	v_mul_lo_u32 v23, s10, v19
	v_mad_co_u64_u32 v[10:11], null, s10, v18, 0
	v_mad_co_u64_u32 v[6:7], null, s18, v22, 0
	v_add_nc_u32_e32 v29, 0x9a, v24
	v_mad_co_u64_u32 v[12:13], null, s18, v26, 0
	v_mad_co_u64_u32 v[14:15], null, s19, v24, v[0:1]
	v_add3_u32 v11, v11, v23, v5
	v_dual_mov_b32 v0, v7 :: v_dual_mov_b32 v7, v9
	v_mad_co_u64_u32 v[20:21], null, s18, v29, 0
	s_delay_alu instid0(VALU_DEP_3) | instskip(NEXT) | instid1(VALU_DEP_3)
	v_lshlrev_b64_e32 v[10:11], 2, v[10:11]
	v_mad_co_u64_u32 v[22:23], null, s19, v22, v[0:1]
	v_mov_b32_e32 v9, v13
	v_mov_b32_e32 v5, v14
	v_mad_co_u64_u32 v[13:14], null, s19, v25, v[7:8]
	v_add_co_u32 v0, s0, s4, v10
	s_delay_alu instid0(VALU_DEP_4)
	v_mad_co_u64_u32 v[14:15], null, s19, v26, v[9:10]
	s_wait_alu 0xf1ff
	v_add_co_ci_u32_e64 v9, s0, s5, v11, s0
	v_dual_mov_b32 v7, v22 :: v_dual_add_nc_u32 v26, 0x2b5, v24
	v_add_co_u32 v40, s0, v0, v2
	v_mov_b32_e32 v0, v21
	v_lshlrev_b64_e32 v[4:5], 2, v[4:5]
	s_wait_alu 0xf1ff
	v_add_co_ci_u32_e64 v41, s0, v9, v3, s0
	v_lshlrev_b64_e32 v[2:3], 2, v[6:7]
	v_mov_b32_e32 v9, v13
	v_mov_b32_e32 v13, v14
	v_add_co_u32 v4, s0, v40, v4
	s_wait_alu 0xf1ff
	v_add_co_ci_u32_e64 v5, s0, v41, v5, s0
	v_add_co_u32 v6, s0, v40, v2
	v_mad_co_u64_u32 v[10:11], null, s19, v29, v[0:1]
	s_wait_alu 0xf1ff
	v_add_co_ci_u32_e64 v7, s0, v41, v3, s0
	v_lshlrev_b64_e32 v[2:3], 2, v[8:9]
	v_lshlrev_b64_e32 v[8:9], 2, v[12:13]
	v_mad_co_u64_u32 v[11:12], null, s18, v26, 0
	v_mad_co_u64_u32 v[22:23], null, s18, v30, 0
	v_dual_mov_b32 v21, v10 :: v_dual_add_nc_u32 v10, 0xe7, v24
	v_add_co_u32 v14, s0, v40, v2
	s_delay_alu instid0(VALU_DEP_4) | instskip(SKIP_3) | instid1(VALU_DEP_3)
	v_mov_b32_e32 v0, v12
	s_wait_alu 0xf1ff
	v_add_co_ci_u32_e64 v15, s0, v41, v3, s0
	v_mad_co_u64_u32 v[27:28], null, s18, v10, 0
	v_mad_co_u64_u32 v[12:13], null, s19, v26, v[0:1]
	v_mov_b32_e32 v0, v23
	v_add_co_u32 v8, s0, v40, v8
	s_wait_alu 0xf1ff
	v_add_co_ci_u32_e64 v9, s0, v41, v9, s0
	s_clause 0x3
	global_load_b32 v2, v[4:5], off
	global_load_b32 v13, v[6:7], off
	;; [unrolled: 1-line block ×4, first 2 shown]
	v_mad_co_u64_u32 v[7:8], null, s19, v30, v[0:1]
	v_mov_b32_e32 v6, v28
	v_add_nc_u32_e32 v30, 0x134, v24
	v_lshlrev_b64_e32 v[8:9], 2, v[11:12]
	v_lshlrev_b64_e32 v[3:4], 2, v[20:21]
	v_add_nc_u32_e32 v14, 0x34f, v24
	v_mad_co_u64_u32 v[32:33], null, s18, v34, 0
	v_mad_co_u64_u32 v[10:11], null, s19, v10, v[6:7]
	v_mad_co_u64_u32 v[11:12], null, s18, v30, 0
	v_add_co_u32 v3, s0, v40, v3
	v_mov_b32_e32 v23, v7
	v_mad_co_u64_u32 v[20:21], null, s18, v14, 0
	s_wait_alu 0xf1ff
	v_add_co_ci_u32_e64 v4, s0, v41, v4, s0
	v_mov_b32_e32 v0, v12
	v_add_co_u32 v6, s0, v40, v8
	s_wait_alu 0xf1ff
	v_add_co_ci_u32_e64 v7, s0, v41, v9, s0
	v_mov_b32_e32 v28, v10
	v_lshlrev_b64_e32 v[8:9], 2, v[22:23]
	v_mad_co_u64_u32 v[22:23], null, s19, v30, v[0:1]
	v_mov_b32_e32 v0, v21
	global_load_b32 v26, v[6:7], off
	v_lshlrev_b64_e32 v[6:7], 2, v[27:28]
	v_add_nc_u32_e32 v28, 0x181, v24
	v_add_co_u32 v8, s0, v40, v8
	v_mov_b32_e32 v12, v22
	v_mad_co_u64_u32 v[21:22], null, s19, v14, v[0:1]
	s_wait_alu 0xf1ff
	v_add_co_ci_u32_e64 v9, s0, v41, v9, s0
	v_mad_co_u64_u32 v[22:23], null, s18, v28, 0
	v_mov_b32_e32 v0, v33
	v_add_nc_u32_e32 v14, 0x3e9, v24
	global_load_b32 v27, v[8:9], off
	v_lshlrev_b64_e32 v[8:9], 2, v[11:12]
	v_add_co_u32 v6, s0, v40, v6
	v_mad_co_u64_u32 v[11:12], null, s19, v34, v[0:1]
	v_mad_co_u64_u32 v[34:35], null, s18, v14, 0
	v_mov_b32_e32 v10, v23
	s_wait_alu 0xf1ff
	v_add_co_ci_u32_e64 v7, s0, v41, v7, s0
	v_add_co_u32 v38, s0, v40, v8
	v_mad_co_u64_u32 v[36:37], null, s18, v31, 0
	s_wait_alu 0xf1ff
	v_add_co_ci_u32_e64 v39, s0, v41, v9, s0
	v_lshlrev_b64_e32 v[8:9], 2, v[20:21]
	v_mov_b32_e32 v0, v35
	v_mad_co_u64_u32 v[20:21], null, s19, v28, v[10:11]
	v_dual_mov_b32 v33, v11 :: v_dual_mov_b32 v10, v37
	s_delay_alu instid0(VALU_DEP_3) | instskip(SKIP_1) | instid1(VALU_DEP_4)
	v_mad_co_u64_u32 v[11:12], null, s19, v14, v[0:1]
	v_add_co_u32 v8, s0, v40, v8
	v_mov_b32_e32 v23, v20
	s_delay_alu instid0(VALU_DEP_4) | instskip(SKIP_4) | instid1(VALU_DEP_4)
	v_lshlrev_b64_e32 v[20:21], 2, v[32:33]
	s_wait_alu 0xf1ff
	v_add_co_ci_u32_e64 v9, s0, v41, v9, s0
	v_mov_b32_e32 v35, v11
	v_mad_co_u64_u32 v[32:33], null, s19, v31, v[10:11]
	v_add_co_u32 v10, s0, v40, v20
	s_wait_alu 0xf1ff
	v_add_co_ci_u32_e64 v11, s0, v41, v21, s0
	global_load_b32 v28, v[8:9], off
	v_lshlrev_b64_e32 v[20:21], 2, v[34:35]
	v_mov_b32_e32 v37, v32
	global_load_b32 v32, v[10:11], off
	v_lshlrev_b64_e32 v[8:9], 2, v[22:23]
	s_delay_alu instid0(VALU_DEP_1) | instskip(SKIP_1) | instid1(VALU_DEP_2)
	v_add_co_u32 v22, s0, v40, v8
	s_wait_alu 0xf1ff
	v_add_co_ci_u32_e64 v23, s0, v41, v9, s0
	v_lshlrev_b64_e32 v[8:9], 2, v[36:37]
	v_add_co_u32 v10, s0, v40, v20
	s_wait_alu 0xf1ff
	v_add_co_ci_u32_e64 v11, s0, v41, v21, s0
	s_delay_alu instid0(VALU_DEP_3)
	v_add_co_u32 v20, s0, v40, v8
	s_wait_alu 0xf1ff
	v_add_co_ci_u32_e64 v21, s0, v41, v9, s0
	s_clause 0x5
	global_load_b32 v33, v[10:11], off
	global_load_b32 v10, v[3:4], off
	;; [unrolled: 1-line block ×6, first 2 shown]
	s_wait_loadcnt 0xc
	v_lshrrev_b32_e32 v21, 16, v13
	s_wait_loadcnt 0xa
	v_lshrrev_b32_e32 v22, 16, v15
	;; [unrolled: 2-line block ×7, first 2 shown]
.LBB0_12:
	s_or_b32 exec_lo, exec_lo, s1
	v_mul_hi_u32 v0, 0xaaaaaaab, v1
	v_sub_f16_e32 v3, v2, v13
	v_sub_f16_e32 v4, v5, v15
	s_wait_loadcnt 0x4
	v_sub_f16_e32 v13, v10, v26
	s_wait_loadcnt 0x3
	;; [unrolled: 2-line block ×5, first 2 shown]
	v_sub_f16_e32 v45, v6, v33
	v_lshrrev_b32_e32 v0, 1, v0
	v_lshlrev_b32_e32 v27, 1, v24
	v_fma_f16 v34, v9, 2.0, -v15
	v_fma_f16 v36, v8, 2.0, -v26
	;; [unrolled: 1-line block ×3, first 2 shown]
	v_lshl_add_u32 v0, v0, 1, v0
	v_fma_f16 v33, v10, 2.0, -v13
	v_fma_f16 v37, v7, 2.0, -v35
	;; [unrolled: 1-line block ×3, first 2 shown]
	v_pack_b32_f16 v15, v34, v15
	v_sub_nc_u32_e32 v0, v1, v0
	v_fma_f16 v1, v2, 2.0, -v3
	v_pack_b32_f16 v34, v36, v26
	v_pack_b32_f16 v32, v32, v4
	;; [unrolled: 1-line block ×3, first 2 shown]
	v_mul_u32_u24_e32 v0, 0x436, v0
	v_pack_b32_f16 v38, v1, v3
	s_load_b64 s[2:3], s[2:3], 0x0
	v_pack_b32_f16 v36, v37, v35
	v_pack_b32_f16 v37, v46, v45
	v_lshlrev_b32_e32 v28, 1, v0
	v_cmp_gt_u32_e64 s0, 21, v24
                                        ; implicit-def: $vgpr60
                                        ; implicit-def: $vgpr61
                                        ; implicit-def: $vgpr62
                                        ; implicit-def: $vgpr55
                                        ; implicit-def: $vgpr57
                                        ; implicit-def: $vgpr63
                                        ; implicit-def: $vgpr66
                                        ; implicit-def: $vgpr69
	s_delay_alu instid0(VALU_DEP_2) | instskip(NEXT) | instid1(VALU_DEP_1)
	v_add_nc_u32_e32 v39, 0, v28
	v_lshl_add_u32 v0, v24, 2, v39
	v_add_nc_u32_e32 v26, v39, v27
	v_lshl_add_u32 v13, v25, 2, v39
	v_add3_u32 v27, 0, v27, v28
	v_lshl_add_u32 v4, v29, 2, v39
	v_lshl_add_u32 v3, v30, 2, v39
	;; [unrolled: 1-line block ×3, first 2 shown]
	ds_store_b32 v0, v38
	ds_store_b32 v13, v32
	;; [unrolled: 1-line block ×3, first 2 shown]
	ds_store_b32 v0, v15 offset:924
	ds_store_b32 v3, v34
	ds_store_b32 v0, v36 offset:1540
	ds_store_b32 v1, v37
	global_wb scope:SCOPE_SE
	s_wait_dscnt 0x0
	s_wait_kmcnt 0x0
	s_barrier_signal -1
	s_barrier_wait -1
	global_inv scope:SCOPE_SE
	ds_load_u16 v43, v26
	ds_load_u16 v68, v27 offset:196
	ds_load_u16 v67, v27 offset:392
	;; [unrolled: 1-line block ×10, first 2 shown]
	v_lshlrev_b32_e32 v34, 1, v25
	s_and_saveexec_b32 s1, s0
	s_cbranch_execz .LBB0_14
; %bb.13:
	s_delay_alu instid0(VALU_DEP_1)
	v_add3_u32 v15, 0, v34, v28
	ds_load_u16 v46, v27 offset:350
	ds_load_u16 v45, v27 offset:546
	;; [unrolled: 1-line block ×9, first 2 shown]
	ds_load_u16 v35, v15
	ds_load_u16 v55, v27 offset:2114
.LBB0_14:
	s_wait_alu 0xfffe
	s_or_b32 exec_lo, exec_lo, s1
	v_lshrrev_b32_e32 v2, 16, v2
	v_lshrrev_b32_e32 v5, 16, v5
	;; [unrolled: 1-line block ×5, first 2 shown]
	v_sub_f16_e32 v15, v2, v21
	v_sub_f16_e32 v21, v5, v22
	v_lshrrev_b32_e32 v7, 16, v7
	v_lshrrev_b32_e32 v6, 16, v6
	v_sub_f16_e32 v11, v10, v11
	v_fma_f16 v2, v2, 2.0, -v15
	v_fma_f16 v5, v5, 2.0, -v21
	v_sub_f16_e32 v12, v9, v12
	v_sub_f16_e32 v14, v8, v14
	;; [unrolled: 1-line block ×4, first 2 shown]
	v_fma_f16 v10, v10, 2.0, -v11
	v_pack_b32_f16 v2, v2, v15
	v_fma_f16 v9, v9, 2.0, -v12
	v_pack_b32_f16 v5, v5, v21
	v_fma_f16 v8, v8, 2.0, -v14
	v_fma_f16 v7, v7, 2.0, -v33
	;; [unrolled: 1-line block ×3, first 2 shown]
	global_wb scope:SCOPE_SE
	s_wait_dscnt 0x0
	s_barrier_signal -1
	s_barrier_wait -1
	global_inv scope:SCOPE_SE
	ds_store_b32 v0, v2
	ds_store_b32 v13, v5
	v_pack_b32_f16 v2, v10, v11
	v_pack_b32_f16 v5, v9, v12
	;; [unrolled: 1-line block ×5, first 2 shown]
	ds_store_b32 v4, v2
	ds_store_b32 v0, v5 offset:924
	ds_store_b32 v3, v6
	ds_store_b32 v0, v7 offset:1540
	ds_store_b32 v1, v8
	global_wb scope:SCOPE_SE
	s_wait_dscnt 0x0
	s_barrier_signal -1
	s_barrier_wait -1
	global_inv scope:SCOPE_SE
	ds_load_u16 v36, v26
	ds_load_u16 v92, v27 offset:196
	ds_load_u16 v91, v27 offset:392
	;; [unrolled: 1-line block ×10, first 2 shown]
                                        ; implicit-def: $vgpr80
                                        ; implicit-def: $vgpr81
                                        ; implicit-def: $vgpr82
                                        ; implicit-def: $vgpr75
                                        ; implicit-def: $vgpr77
                                        ; implicit-def: $vgpr83
                                        ; implicit-def: $vgpr87
                                        ; implicit-def: $vgpr90
	s_and_saveexec_b32 s1, s0
	s_cbranch_execz .LBB0_16
; %bb.15:
	v_add3_u32 v0, 0, v34, v28
	ds_load_u16 v73, v27 offset:350
	ds_load_u16 v70, v27 offset:546
	;; [unrolled: 1-line block ×9, first 2 shown]
	ds_load_u16 v33, v0
	ds_load_u16 v75, v27 offset:2114
.LBB0_16:
	s_wait_alu 0xfffe
	s_or_b32 exec_lo, exec_lo, s1
	v_and_b32_e32 v37, 1, v24
	v_and_b32_e32 v32, 1, v25
	v_lshrrev_b32_e32 v38, 1, v24
	s_delay_alu instid0(VALU_DEP_3) | instskip(NEXT) | instid1(VALU_DEP_3)
	v_mul_u32_u24_e32 v0, 10, v37
	v_mul_u32_u24_e32 v1, 10, v32
	s_delay_alu instid0(VALU_DEP_3) | instskip(NEXT) | instid1(VALU_DEP_3)
	v_mul_u32_u24_e32 v38, 22, v38
	v_lshlrev_b32_e32 v0, 2, v0
	s_delay_alu instid0(VALU_DEP_3) | instskip(NEXT) | instid1(VALU_DEP_3)
	v_lshlrev_b32_e32 v22, 2, v1
	v_or_b32_e32 v38, v38, v37
	v_lshrrev_b32_e32 v37, 1, v25
	s_clause 0x5
	global_load_b128 v[8:11], v0, s[8:9]
	global_load_b128 v[4:7], v0, s[8:9] offset:16
	global_load_b64 v[20:21], v0, s[8:9] offset:32
	global_load_b128 v[0:3], v22, s[8:9]
	global_load_b128 v[12:15], v22, s[8:9] offset:16
	global_load_b64 v[22:23], v22, s[8:9] offset:32
	v_lshlrev_b32_e32 v38, 1, v38
	global_wb scope:SCOPE_SE
	s_wait_loadcnt_dscnt 0x0
	s_barrier_signal -1
	s_barrier_wait -1
	global_inv scope:SCOPE_SE
	v_add3_u32 v48, 0, v38, v28
	v_lshrrev_b32_e32 v50, 16, v20
	v_lshrrev_b32_e32 v38, 16, v8
	;; [unrolled: 1-line block ×15, first 2 shown]
	v_mul_f16_e32 v98, v92, v38
	v_mul_f16_e32 v110, v68, v38
	;; [unrolled: 1-line block ×20, first 2 shown]
	v_lshrrev_b32_e32 v100, 16, v0
	v_lshrrev_b32_e32 v102, 16, v2
	v_lshrrev_b32_e32 v104, 16, v12
	v_lshrrev_b32_e32 v106, 16, v14
	v_lshrrev_b32_e32 v109, 16, v23
	v_mul_f16_e32 v47, v70, v101
	v_mul_f16_e32 v101, v45, v101
	;; [unrolled: 1-line block ×10, first 2 shown]
	v_fmac_f16_e32 v98, v68, v8
	v_fma_f16 v68, v92, v8, -v110
	v_fmac_f16_e32 v96, v67, v9
	v_fma_f16 v67, v91, v9, -v111
	;; [unrolled: 2-line block ×10, first 2 shown]
	v_mul_f16_e32 v50, v73, v100
	v_mul_f16_e32 v100, v46, v100
	;; [unrolled: 1-line block ×10, first 2 shown]
	v_fmac_f16_e32 v47, v45, v1
	v_fma_f16 v20, v70, v1, -v101
	v_fmac_f16_e32 v40, v61, v3
	v_fma_f16 v6, v81, v3, -v103
	;; [unrolled: 2-line block ×5, first 2 shown]
	v_sub_f16_e32 v1, v68, v52
	v_sub_f16_e32 v3, v67, v53
	;; [unrolled: 1-line block ×5, first 2 shown]
	v_add_f16_e32 v45, v43, v98
	v_fmac_f16_e32 v50, v46, v0
	v_fma_f16 v21, v73, v0, -v100
	v_fmac_f16_e32 v42, v60, v2
	v_fma_f16 v8, v80, v2, -v102
	v_fmac_f16_e32 v38, v62, v12
	v_fma_f16 v4, v82, v12, -v104
	v_fmac_f16_e32 v41, v66, v14
	v_fma_f16 v7, v87, v14, -v106
	v_fmac_f16_e32 v51, v55, v23
	v_fma_f16 v10, v75, v23, -v109
	v_add_f16_e32 v0, v98, v99
	v_add_f16_e32 v2, v96, v97
	;; [unrolled: 1-line block ×5, first 2 shown]
	v_mul_f16_e32 v46, 0xb853, v1
	v_mul_f16_e32 v55, 0xbb47, v1
	v_mul_f16_e32 v57, 0xbbeb, v1
	v_mul_f16_e32 v60, 0xba0c, v1
	v_mul_f16_e32 v1, 0xb482, v1
	v_mul_f16_e32 v61, 0xbb47, v3
	v_mul_f16_e32 v62, 0xba0c, v3
	v_mul_f16_e32 v63, 0x3482, v3
	v_mul_f16_e32 v66, 0x3beb, v3
	v_mul_f16_e32 v3, 0x3853, v3
	v_mul_f16_e32 v69, 0xbbeb, v13
	v_mul_f16_e32 v70, 0x3482, v13
	v_mul_f16_e32 v73, 0x3b47, v13
	v_mul_f16_e32 v74, 0xb853, v13
	v_mul_f16_e32 v13, 0xba0c, v13
	v_mul_f16_e32 v75, 0xba0c, v15
	v_mul_f16_e32 v76, 0x3beb, v15
	v_mul_f16_e32 v77, 0xb853, v15
	v_mul_f16_e32 v78, 0xb482, v15
	v_mul_f16_e32 v15, 0x3b47, v15
	v_mul_f16_e32 v79, 0xb482, v22
	v_mul_f16_e32 v80, 0x3853, v22
	v_mul_f16_e32 v81, 0xba0c, v22
	v_mul_f16_e32 v82, 0x3b47, v22
	v_mul_f16_e32 v22, 0xbbeb, v22
	v_add_f16_e32 v45, v45, v96
	v_fmamk_f16 v83, v0, 0x3abb, v46
	v_fma_f16 v46, v0, 0x3abb, -v46
	v_fmamk_f16 v84, v0, 0x36a6, v55
	v_fma_f16 v55, v0, 0x36a6, -v55
	;; [unrolled: 2-line block ×25, first 2 shown]
	v_add_f16_e32 v23, v45, v94
	v_add_f16_e32 v45, v43, v83
	;; [unrolled: 1-line block ×58, first 2 shown]
	ds_store_b16 v48, v12 offset:8
	ds_store_b16 v48, v14 offset:12
	;; [unrolled: 1-line block ×7, first 2 shown]
	ds_store_b16 v48, v3
	ds_store_b16 v48, v15 offset:32
	ds_store_b16 v48, v13 offset:36
	;; [unrolled: 1-line block ×3, first 2 shown]
	s_and_saveexec_b32 s1, s0
	s_cbranch_execz .LBB0_18
; %bb.17:
	v_sub_f16_e32 v2, v21, v10
	v_add_f16_e32 v1, v50, v51
	v_sub_f16_e32 v12, v20, v11
	v_add_f16_e32 v3, v47, v49
	v_sub_f16_e32 v14, v8, v9
	v_mul_f16_e32 v45, 0xb482, v2
	v_add_f16_e32 v13, v42, v44
	v_mul_f16_e32 v46, 0x3853, v12
	v_sub_f16_e32 v22, v6, v7
	v_mul_f16_e32 v55, 0xba0c, v14
	v_fma_f16 v61, v1, 0xbbad, -v45
	v_add_f16_e32 v15, v40, v41
	v_fma_f16 v66, v3, 0x3abb, -v46
	v_sub_f16_e32 v43, v4, v5
	v_mul_f16_e32 v57, 0x3b47, v22
	v_add_f16_e32 v61, v35, v61
	v_fma_f16 v69, v13, 0xb93d, -v55
	v_fmac_f16_e32 v45, 0xbbad, v1
	v_add_f16_e32 v23, v38, v39
	v_mul_f16_e32 v60, 0xbbeb, v43
	v_add_f16_e32 v61, v66, v61
	v_mul_f16_e32 v62, 0xba0c, v2
	v_fma_f16 v70, v15, 0x36a6, -v57
	v_fmac_f16_e32 v46, 0x3abb, v3
	v_add_f16_e32 v45, v35, v45
	v_add_f16_e32 v61, v69, v61
	v_mul_f16_e32 v63, 0x3beb, v12
	v_fma_f16 v66, v23, 0xb08e, -v60
	v_fmac_f16_e32 v55, 0xb93d, v13
	v_fma_f16 v69, v1, 0xb93d, -v62
	v_add_f16_e32 v45, v46, v45
	v_add_f16_e32 v46, v70, v61
	v_fmac_f16_e32 v57, 0x36a6, v15
	v_fmac_f16_e32 v60, 0xb08e, v23
	v_add_f16_e32 v61, v35, v69
	v_add_f16_e32 v45, v55, v45
	;; [unrolled: 1-line block ×3, first 2 shown]
	v_fma_f16 v55, v3, 0xb08e, -v63
	v_mul_f16_e32 v66, 0xb853, v14
	v_fmac_f16_e32 v62, 0xb93d, v1
	v_add_f16_e32 v45, v57, v45
	v_fmac_f16_e32 v63, 0xb08e, v3
	v_add_f16_e32 v55, v55, v61
	v_fma_f16 v57, v13, 0x3abb, -v66
	v_mul_f16_e32 v61, 0xb482, v22
	v_add_f16_e32 v45, v60, v45
	v_add_f16_e32 v60, v35, v62
	v_mul_f16_e32 v62, 0xbbeb, v2
	v_add_f16_e32 v55, v57, v55
	v_fma_f16 v57, v15, 0xbbad, -v61
	v_fmac_f16_e32 v66, 0x3abb, v13
	v_add_f16_e32 v60, v63, v60
	v_mul_f16_e32 v63, 0x3482, v12
	v_mul_f16_e32 v69, 0x3b47, v43
	v_add_f16_e32 v55, v57, v55
	v_fma_f16 v57, v1, 0xb08e, -v62
	v_add_f16_e32 v60, v66, v60
	v_fmac_f16_e32 v61, 0xbbad, v15
	v_fma_f16 v66, v3, 0xbbad, -v63
	v_mul_f16_e32 v73, 0x3b47, v14
	v_add_f16_e32 v57, v35, v57
	v_add_f16_e32 v0, v35, v50
	v_fma_f16 v70, v23, 0x36a6, -v69
	v_add_f16_e32 v60, v61, v60
	v_fmac_f16_e32 v62, 0xb08e, v1
	v_add_f16_e32 v57, v66, v57
	v_fma_f16 v61, v13, 0x36a6, -v73
	v_mul_f16_e32 v66, 0xb853, v22
	v_add_f16_e32 v0, v0, v47
	v_add_f16_e32 v55, v70, v55
	;; [unrolled: 1-line block ×3, first 2 shown]
	v_fmac_f16_e32 v63, 0xbbad, v3
	v_add_f16_e32 v57, v61, v57
	v_fma_f16 v61, v15, 0x3abb, -v66
	v_mul_f16_e32 v70, 0xbb47, v2
	v_add_f16_e32 v0, v0, v42
	v_add_f16_e32 v62, v63, v62
	v_fmac_f16_e32 v73, 0x36a6, v13
	v_add_f16_e32 v57, v61, v57
	v_fma_f16 v61, v1, 0x36a6, -v70
	v_mul_f16_e32 v63, 0xba0c, v12
	v_fmac_f16_e32 v70, 0x36a6, v1
	v_mul_f16_e32 v2, 0xb853, v2
	v_add_f16_e32 v0, v0, v40
	v_add_f16_e32 v62, v73, v62
	v_fma_f16 v73, v3, 0xb93d, -v63
	v_add_f16_e32 v70, v35, v70
	v_fmac_f16_e32 v63, 0xb93d, v3
	v_mul_f16_e32 v12, 0xbb47, v12
	v_fma_f16 v76, v1, 0x3abb, -v2
	v_fmac_f16_e32 v2, 0x3abb, v1
	v_add_f16_e32 v0, v0, v38
	v_fmac_f16_e32 v69, 0x36a6, v23
	v_add_f16_e32 v1, v63, v70
	v_fma_f16 v63, v3, 0x36a6, -v12
	v_add_f16_e32 v2, v35, v2
	v_fmac_f16_e32 v12, 0x36a6, v3
	v_add_f16_e32 v0, v0, v39
	v_fmac_f16_e32 v66, 0x3abb, v15
	v_add_f16_e32 v61, v35, v61
	v_mul_f16_e32 v74, 0x3482, v14
	v_mul_f16_e32 v14, 0xbbeb, v14
	v_add_f16_e32 v60, v69, v60
	v_mul_f16_e32 v69, 0xba0c, v43
	v_add_f16_e32 v2, v12, v2
	v_mul_lo_u32 v12, v37, 22
	v_add_f16_e32 v0, v0, v41
	v_add_f16_e32 v3, v35, v76
	;; [unrolled: 1-line block ×4, first 2 shown]
	v_fma_f16 v66, v13, 0xbbad, -v74
	v_mul_f16_e32 v73, 0x3beb, v22
	v_fma_f16 v35, v13, 0xb08e, -v14
	v_mul_f16_e32 v22, 0xba0c, v22
	v_fmac_f16_e32 v14, 0xb08e, v13
	v_fma_f16 v75, v23, 0xb93d, -v69
	v_fmac_f16_e32 v69, 0xb93d, v23
	v_fmac_f16_e32 v74, 0xbbad, v13
	v_add_f16_e32 v0, v0, v44
	v_add_f16_e32 v3, v63, v3
	v_or_b32_e32 v12, v12, v32
	v_add_f16_e32 v61, v66, v61
	v_mul_f16_e32 v66, 0x3853, v43
	v_fma_f16 v13, v15, 0xb93d, -v22
	v_mul_f16_e32 v43, 0xb482, v43
	v_add_f16_e32 v2, v14, v2
	v_fmac_f16_e32 v22, 0xb93d, v15
	v_add_f16_e32 v62, v69, v62
	v_fma_f16 v69, v15, 0xb08e, -v73
	v_add_f16_e32 v1, v74, v1
	v_fmac_f16_e32 v73, 0xb08e, v15
	v_add_f16_e32 v0, v0, v49
	v_add_f16_e32 v3, v35, v3
	v_lshlrev_b32_e32 v12, 1, v12
	v_fma_f16 v14, v23, 0xbbad, -v43
	v_add_f16_e32 v2, v22, v2
	v_fmac_f16_e32 v43, 0xbbad, v23
	v_add_f16_e32 v57, v75, v57
	v_fma_f16 v75, v23, 0x3abb, -v66
	v_add_f16_e32 v1, v73, v1
	v_fmac_f16_e32 v66, 0x3abb, v23
	v_add_f16_e32 v0, v0, v51
	v_add_f16_e32 v15, v69, v61
	;; [unrolled: 1-line block ×3, first 2 shown]
	v_add3_u32 v12, 0, v12, v28
	v_add_f16_e32 v2, v43, v2
	v_add_f16_e32 v1, v66, v1
	;; [unrolled: 1-line block ×4, first 2 shown]
	ds_store_b16 v12, v0
	ds_store_b16 v12, v2 offset:4
	ds_store_b16 v12, v1 offset:8
	;; [unrolled: 1-line block ×10, first 2 shown]
.LBB0_18:
	s_wait_alu 0xfffe
	s_or_b32 exec_lo, exec_lo, s1
	v_add_f16_e32 v0, v36, v68
	v_add_f16_e32 v1, v68, v52
	v_sub_f16_e32 v2, v98, v99
	v_add_f16_e32 v3, v67, v53
	v_sub_f16_e32 v12, v96, v97
	v_add_f16_e32 v0, v0, v67
	v_mul_f16_e32 v13, 0x3abb, v1
	v_mul_f16_e32 v14, 0x36a6, v1
	v_mul_f16_e32 v15, 0xb08e, v1
	v_mul_f16_e32 v22, 0xb93d, v1
	v_add_f16_e32 v0, v0, v65
	v_mul_f16_e32 v1, 0xbbad, v1
	v_mul_f16_e32 v23, 0x36a6, v3
	v_fmamk_f16 v45, v2, 0x3853, v13
	v_fmac_f16_e32 v13, 0xb853, v2
	v_add_f16_e32 v0, v0, v64
	v_mul_f16_e32 v43, 0xbbad, v3
	v_fmamk_f16 v46, v2, 0x3b47, v14
	v_fmac_f16_e32 v14, 0xbb47, v2
	v_fmamk_f16 v55, v2, 0x3beb, v15
	v_add_f16_e32 v0, v0, v59
	v_fmac_f16_e32 v15, 0xbbeb, v2
	v_fmamk_f16 v57, v2, 0x3a0c, v22
	v_fmac_f16_e32 v22, 0xba0c, v2
	v_fmamk_f16 v60, v2, 0x3482, v1
	v_add_f16_e32 v0, v0, v58
	v_fmac_f16_e32 v1, 0xb482, v2
	v_fmamk_f16 v2, v12, 0x3b47, v23
	v_fmac_f16_e32 v23, 0xbb47, v12
	v_add_f16_e32 v13, v36, v13
	v_add_f16_e32 v0, v0, v56
	v_mul_f16_e32 v35, 0xb93d, v3
	v_add_f16_e32 v15, v36, v15
	v_add_f16_e32 v45, v36, v45
	;; [unrolled: 1-line block ×4, first 2 shown]
	v_fmamk_f16 v61, v12, 0x3a0c, v35
	v_add_f16_e32 v14, v36, v14
	v_fmac_f16_e32 v35, 0xba0c, v12
	v_add_f16_e32 v55, v36, v55
	v_add_f16_e32 v0, v0, v53
	v_add_f16_e32 v57, v36, v57
	v_add_f16_e32 v22, v36, v22
	v_add_f16_e32 v53, v36, v60
	v_add_f16_e32 v1, v36, v1
	v_add_f16_e32 v52, v0, v52
	v_add_f16_e32 v0, v23, v13
	v_fmamk_f16 v23, v12, 0xb482, v43
	v_fmac_f16_e32 v43, 0x3482, v12
	v_mul_f16_e32 v13, 0xb08e, v3
	v_mul_f16_e32 v3, 0x3abb, v3
	v_add_f16_e32 v2, v2, v45
	v_add_f16_e32 v36, v61, v46
	;; [unrolled: 1-line block ×5, first 2 shown]
	v_fmamk_f16 v35, v12, 0xbbeb, v13
	v_fmac_f16_e32 v13, 0x3beb, v12
	v_fmamk_f16 v45, v12, 0xb853, v3
	v_sub_f16_e32 v46, v94, v95
	v_mul_f16_e32 v54, 0xb08e, v43
	v_fmac_f16_e32 v3, 0x3853, v12
	v_add_f16_e32 v12, v13, v22
	v_add_f16_e32 v13, v45, v53
	v_mul_f16_e32 v22, 0xbbad, v43
	v_fmamk_f16 v45, v46, 0x3beb, v54
	v_add_f16_e32 v1, v3, v1
	v_mul_f16_e32 v3, 0x36a6, v43
	v_add_f16_e32 v23, v23, v55
	v_fmamk_f16 v53, v46, 0xb482, v22
	v_add_f16_e32 v2, v45, v2
	v_fmac_f16_e32 v22, 0x3482, v46
	v_fmamk_f16 v45, v46, 0xbb47, v3
	v_fmac_f16_e32 v3, 0x3b47, v46
	v_fmac_f16_e32 v54, 0xbbeb, v46
	v_add_f16_e32 v35, v35, v57
	v_add_f16_e32 v14, v22, v14
	v_mul_f16_e32 v22, 0x3abb, v43
	v_mul_f16_e32 v43, 0xb93d, v43
	v_add_f16_e32 v3, v3, v15
	v_add_f16_e32 v15, v64, v56
	;; [unrolled: 1-line block ×5, first 2 shown]
	v_fmamk_f16 v45, v46, 0x3853, v22
	v_fmac_f16_e32 v22, 0xb853, v46
	v_fmamk_f16 v53, v46, 0x3a0c, v43
	v_sub_f16_e32 v54, v86, v93
	v_mul_f16_e32 v55, 0xb93d, v15
	v_fmac_f16_e32 v43, 0xba0c, v46
	v_add_f16_e32 v35, v45, v35
	v_add_f16_e32 v12, v22, v12
	v_mul_f16_e32 v45, 0xb08e, v15
	v_fmamk_f16 v22, v54, 0x3a0c, v55
	v_add_f16_e32 v1, v43, v1
	v_mul_f16_e32 v43, 0x3abb, v15
	v_add_f16_e32 v13, v53, v13
	v_mul_f16_e32 v53, 0xbbad, v15
	v_add_f16_e32 v2, v22, v2
	v_fmamk_f16 v22, v54, 0xbbeb, v45
	v_fmamk_f16 v46, v54, 0x3853, v43
	v_fmac_f16_e32 v43, 0xb853, v54
	v_fmac_f16_e32 v45, 0x3beb, v54
	v_mul_f16_e32 v15, 0x36a6, v15
	v_add_f16_e32 v22, v22, v36
	v_fmamk_f16 v36, v54, 0x3482, v53
	v_add_f16_e32 v3, v43, v3
	v_add_f16_e32 v43, v59, v58
	v_fmac_f16_e32 v55, 0xba0c, v54
	v_add_f16_e32 v14, v45, v14
	v_add_f16_e32 v23, v46, v23
	;; [unrolled: 1-line block ×3, first 2 shown]
	v_fmamk_f16 v35, v54, 0xbb47, v15
	v_sub_f16_e32 v36, v71, v72
	v_mul_f16_e32 v45, 0xbbad, v43
	v_fmac_f16_e32 v15, 0x3b47, v54
	v_fmac_f16_e32 v53, 0xb482, v54
	v_add_f16_e32 v0, v55, v0
	v_add_f16_e32 v54, v35, v13
	v_fmamk_f16 v13, v36, 0x3482, v45
	v_fmac_f16_e32 v45, 0xb482, v36
	v_add_f16_e32 v55, v15, v1
	v_mul_f16_e32 v15, 0xb93d, v43
	v_add_f16_e32 v53, v53, v12
	v_mul_f16_e32 v12, 0x3abb, v43
	;; [unrolled: 2-line block ×3, first 2 shown]
	v_fmamk_f16 v0, v36, 0x3a0c, v15
	v_fmac_f16_e32 v15, 0xba0c, v36
	v_fmamk_f16 v1, v36, 0xb853, v12
	v_fmac_f16_e32 v12, 0x3853, v36
	v_mul_f16_e32 v61, 0xb08e, v43
	v_add_f16_e32 v62, v0, v23
	v_lshlrev_b32_e32 v0, 1, v30
	v_add_f16_e32 v58, v1, v22
	v_lshlrev_b32_e32 v1, 1, v31
	;; [unrolled: 2-line block ×3, first 2 shown]
	v_add3_u32 v0, 0, v0, v28
	v_add_f16_e32 v56, v13, v2
	v_add3_u32 v1, 0, v1, v28
	v_add3_u32 v2, 0, v34, v28
	v_add_f16_e32 v60, v12, v14
	v_fmamk_f16 v64, v36, 0xbb47, v59
	v_fmac_f16_e32 v59, 0x3b47, v36
	v_fmamk_f16 v65, v36, 0x3beb, v61
	v_fmac_f16_e32 v61, 0xbbeb, v36
	global_wb scope:SCOPE_SE
	s_wait_dscnt 0x0
	s_barrier_signal -1
	s_barrier_wait -1
	global_inv scope:SCOPE_SE
	v_add3_u32 v3, 0, v3, v28
	ds_load_u16 v15, v27 offset:1848
	ds_load_u16 v35, v0
	ds_load_u16 v34, v1
	;; [unrolled: 1-line block ×4, first 2 shown]
	ds_load_u16 v23, v27 offset:462
	ds_load_u16 v22, v27 offset:770
	;; [unrolled: 1-line block ×7, first 2 shown]
	ds_load_u16 v45, v3
	ds_load_u16 v30, v27 offset:2002
	v_add_f16_e32 v46, v64, v46
	v_add_f16_e32 v53, v59, v53
	;; [unrolled: 1-line block ×4, first 2 shown]
	global_wb scope:SCOPE_SE
	s_wait_dscnt 0x0
	s_barrier_signal -1
	s_barrier_wait -1
	global_inv scope:SCOPE_SE
	ds_store_b16 v48, v52
	ds_store_b16 v48, v56 offset:4
	ds_store_b16 v48, v58 offset:8
	;; [unrolled: 1-line block ×10, first 2 shown]
	s_and_saveexec_b32 s1, s0
	s_cbranch_execz .LBB0_20
; %bb.19:
	v_add_f16_e32 v46, v33, v21
	v_sub_f16_e32 v48, v50, v51
	v_add_f16_e32 v50, v20, v11
	v_add_f16_e32 v21, v21, v10
	v_sub_f16_e32 v47, v47, v49
	v_add_f16_e32 v20, v46, v20
	v_sub_f16_e32 v42, v42, v44
	v_mul_f16_e32 v53, 0x36a6, v50
	v_mul_f16_e32 v46, 0x3abb, v21
	;; [unrolled: 1-line block ×3, first 2 shown]
	v_add_f16_e32 v20, v20, v8
	v_mul_f16_e32 v51, 0xb08e, v21
	v_mul_f16_e32 v52, 0xb93d, v21
	;; [unrolled: 1-line block ×3, first 2 shown]
	v_fmamk_f16 v56, v48, 0x3853, v46
	v_add_f16_e32 v20, v20, v6
	v_fmac_f16_e32 v46, 0xb853, v48
	v_mul_f16_e32 v54, 0xb93d, v50
	v_fmamk_f16 v57, v48, 0x3b47, v49
	v_fmac_f16_e32 v49, 0xbb47, v48
	v_add_f16_e32 v20, v20, v4
	v_fmamk_f16 v58, v48, 0x3beb, v51
	v_fmac_f16_e32 v51, 0xbbeb, v48
	v_fmamk_f16 v59, v48, 0x3a0c, v52
	v_fmac_f16_e32 v52, 0xba0c, v48
	v_add_f16_e32 v20, v20, v5
	v_fmamk_f16 v60, v48, 0x3482, v21
	v_fmac_f16_e32 v21, 0xb482, v48
	v_fmamk_f16 v48, v47, 0x3b47, v53
	v_fmac_f16_e32 v53, 0xbb47, v47
	v_add_f16_e32 v20, v20, v7
	v_add_f16_e32 v46, v33, v46
	v_mul_f16_e32 v55, 0xbbad, v50
	v_fmamk_f16 v61, v47, 0x3a0c, v54
	v_add_f16_e32 v49, v33, v49
	v_add_f16_e32 v20, v20, v9
	v_fmac_f16_e32 v54, 0xba0c, v47
	v_add_f16_e32 v8, v8, v9
	v_add_f16_e32 v56, v33, v56
	;; [unrolled: 1-line block ×7, first 2 shown]
	v_mul_f16_e32 v44, 0xb08e, v8
	v_add_f16_e32 v10, v11, v10
	v_add_f16_e32 v11, v53, v46
	v_mul_f16_e32 v53, 0xb08e, v50
	v_mul_f16_e32 v50, 0x3abb, v50
	v_add_f16_e32 v58, v33, v58
	v_add_f16_e32 v51, v33, v51
	;; [unrolled: 1-line block ×3, first 2 shown]
	v_fmamk_f16 v9, v47, 0xbbeb, v53
	v_fmac_f16_e32 v53, 0x3beb, v47
	v_fmamk_f16 v54, v47, 0xb853, v50
	v_add_f16_e32 v21, v33, v21
	v_add_f16_e32 v33, v48, v56
	v_fmamk_f16 v46, v47, 0xb482, v55
	v_fmac_f16_e32 v55, 0x3482, v47
	v_fmac_f16_e32 v50, 0x3853, v47
	v_add_f16_e32 v20, v53, v20
	v_add_f16_e32 v47, v54, v52
	v_fmamk_f16 v52, v42, 0x3beb, v44
	v_mul_f16_e32 v53, 0xbbad, v8
	v_add_f16_e32 v48, v61, v57
	v_add_f16_e32 v21, v50, v21
	v_fmac_f16_e32 v44, 0xbbeb, v42
	v_mul_f16_e32 v50, 0x36a6, v8
	v_add_f16_e32 v33, v52, v33
	v_fmamk_f16 v52, v42, 0xb482, v53
	v_add_f16_e32 v46, v46, v58
	v_add_f16_e32 v51, v55, v51
	;; [unrolled: 1-line block ×3, first 2 shown]
	v_fmamk_f16 v44, v42, 0xbb47, v50
	v_fmac_f16_e32 v50, 0x3b47, v42
	v_add_f16_e32 v48, v52, v48
	v_mul_f16_e32 v52, 0x3abb, v8
	v_add_f16_e32 v6, v6, v7
	v_mul_f16_e32 v7, 0xb93d, v8
	v_add_f16_e32 v9, v9, v59
	v_add_f16_e32 v44, v44, v46
	;; [unrolled: 1-line block ×3, first 2 shown]
	v_fmamk_f16 v8, v42, 0x3853, v52
	v_fmac_f16_e32 v52, 0xb853, v42
	v_sub_f16_e32 v40, v40, v41
	v_mul_f16_e32 v41, 0xb93d, v6
	v_fmamk_f16 v50, v42, 0x3a0c, v7
	v_fmac_f16_e32 v53, 0x3482, v42
	v_add_f16_e32 v8, v8, v9
	v_add_f16_e32 v9, v52, v20
	v_fmac_f16_e32 v7, 0xba0c, v42
	v_fmamk_f16 v20, v40, 0x3a0c, v41
	v_add_f16_e32 v42, v50, v47
	v_mul_f16_e32 v47, 0xb08e, v6
	v_fmac_f16_e32 v41, 0xba0c, v40
	v_mul_lo_u32 v37, v37, 22
	v_add_f16_e32 v7, v7, v21
	v_add_f16_e32 v20, v20, v33
	v_mul_f16_e32 v21, 0x3abb, v6
	v_fmamk_f16 v33, v40, 0xbbeb, v47
	v_add_f16_e32 v11, v41, v11
	v_mul_f16_e32 v41, 0xbbad, v6
	v_mul_f16_e32 v6, 0x36a6, v6
	v_add_f16_e32 v4, v4, v5
	v_fmac_f16_e32 v47, 0x3beb, v40
	v_fmamk_f16 v50, v40, 0x3853, v21
	v_add_f16_e32 v33, v33, v48
	v_fmac_f16_e32 v21, 0xb853, v40
	v_fmamk_f16 v48, v40, 0x3482, v41
	v_fmac_f16_e32 v41, 0xb482, v40
	v_fmamk_f16 v5, v40, 0xbb47, v6
	v_fmac_f16_e32 v6, 0x3b47, v40
	v_sub_f16_e32 v38, v38, v39
	v_mul_f16_e32 v39, 0xbbad, v4
	v_mul_f16_e32 v40, 0x3abb, v4
	v_add_f16_e32 v49, v53, v49
	v_or_b32_e32 v32, v37, v32
	v_add_f16_e32 v9, v41, v9
	v_add_f16_e32 v5, v5, v42
	;; [unrolled: 1-line block ×3, first 2 shown]
	v_fmamk_f16 v7, v38, 0x3482, v39
	v_fmamk_f16 v41, v38, 0xb853, v40
	v_mul_f16_e32 v42, 0xb93d, v4
	v_add_f16_e32 v47, v47, v49
	v_fmac_f16_e32 v39, 0xb482, v38
	v_fmac_f16_e32 v40, 0x3853, v38
	v_mul_f16_e32 v37, 0x36a6, v4
	v_mul_f16_e32 v4, 0xb08e, v4
	v_lshlrev_b32_e32 v32, 1, v32
	v_add_f16_e32 v44, v50, v44
	v_add_f16_e32 v7, v7, v20
	;; [unrolled: 1-line block ×3, first 2 shown]
	v_fmamk_f16 v33, v38, 0x3a0c, v42
	v_add_f16_e32 v8, v48, v8
	v_add_f16_e32 v11, v39, v11
	;; [unrolled: 1-line block ×3, first 2 shown]
	v_fmamk_f16 v40, v38, 0xbb47, v37
	v_add_f16_e32 v21, v21, v46
	v_fmac_f16_e32 v42, 0xba0c, v38
	v_fmac_f16_e32 v37, 0x3b47, v38
	v_fmamk_f16 v41, v38, 0x3beb, v4
	v_fmac_f16_e32 v4, 0xbbeb, v38
	v_add3_u32 v32, 0, v32, v28
	v_add_f16_e32 v33, v33, v44
	v_add_f16_e32 v8, v40, v8
	;; [unrolled: 1-line block ×6, first 2 shown]
	ds_store_b16 v32, v10
	ds_store_b16 v32, v7 offset:4
	ds_store_b16 v32, v20 offset:8
	;; [unrolled: 1-line block ×10, first 2 shown]
.LBB0_20:
	s_wait_alu 0xfffe
	s_or_b32 exec_lo, exec_lo, s1
	v_lshrrev_b16 v4, 1, v24
	v_lshrrev_b16 v5, 1, v25
	global_wb scope:SCOPE_SE
	s_wait_dscnt 0x0
	s_barrier_signal -1
	s_barrier_wait -1
	v_and_b32_e32 v4, 0x7f, v4
	v_and_b32_e32 v5, 0x7f, v5
	global_inv scope:SCOPE_SE
	v_mul_lo_u16 v4, 0xbb, v4
	s_delay_alu instid0(VALU_DEP_1) | instskip(SKIP_1) | instid1(VALU_DEP_2)
	v_lshrrev_b16 v37, 11, v4
	v_mul_lo_u16 v4, 0xbb, v5
	v_mul_lo_u16 v5, v37, 22
	s_delay_alu instid0(VALU_DEP_2) | instskip(SKIP_1) | instid1(VALU_DEP_3)
	v_lshrrev_b16 v38, 11, v4
	v_and_b32_e32 v37, 0xffff, v37
	v_sub_nc_u16 v4, v24, v5
	s_delay_alu instid0(VALU_DEP_3) | instskip(SKIP_1) | instid1(VALU_DEP_4)
	v_mul_lo_u16 v5, v38, 22
	v_and_b32_e32 v38, 0xffff, v38
	v_mad_u32_u24 v37, 0x134, v37, 0
	s_delay_alu instid0(VALU_DEP_4) | instskip(NEXT) | instid1(VALU_DEP_4)
	v_and_b32_e32 v39, 0xff, v4
	v_sub_nc_u16 v4, v25, v5
	s_delay_alu instid0(VALU_DEP_4) | instskip(NEXT) | instid1(VALU_DEP_3)
	v_mad_u32_u24 v38, 0x134, v38, 0
	v_mul_u32_u24_e32 v5, 6, v39
	s_delay_alu instid0(VALU_DEP_3) | instskip(SKIP_1) | instid1(VALU_DEP_3)
	v_and_b32_e32 v40, 0xff, v4
	v_lshlrev_b32_e32 v39, 1, v39
	v_lshlrev_b32_e32 v8, 2, v5
	s_delay_alu instid0(VALU_DEP_3) | instskip(SKIP_1) | instid1(VALU_DEP_4)
	v_mul_u32_u24_e32 v9, 6, v40
	v_lshlrev_b32_e32 v40, 1, v40
	v_add3_u32 v37, v37, v39, v28
	global_load_b128 v[4:7], v8, s[8:9] offset:80
	v_lshlrev_b32_e32 v32, 2, v9
	v_add3_u32 v28, v38, v40, v28
	s_clause 0x2
	global_load_b64 v[20:21], v8, s[8:9] offset:96
	global_load_b128 v[8:11], v32, s[8:9] offset:80
	global_load_b64 v[32:33], v32, s[8:9] offset:96
	ds_load_u16 v41, v27 offset:1848
	ds_load_u16 v42, v0
	ds_load_u16 v44, v1
	;; [unrolled: 1-line block ×4, first 2 shown]
	ds_load_u16 v48, v27 offset:462
	ds_load_u16 v49, v27 offset:770
	;; [unrolled: 1-line block ×7, first 2 shown]
	ds_load_u16 v55, v3
	ds_load_u16 v56, v27 offset:2002
	global_wb scope:SCOPE_SE
	s_wait_loadcnt_dscnt 0x0
	s_barrier_signal -1
	s_barrier_wait -1
	global_inv scope:SCOPE_SE
	v_lshrrev_b32_e32 v38, 16, v4
	v_lshrrev_b32_e32 v39, 16, v5
	;; [unrolled: 1-line block ×12, first 2 shown]
	v_mul_f16_e32 v66, v55, v38
	v_mul_f16_e32 v38, v45, v38
	;; [unrolled: 1-line block ×24, first 2 shown]
	v_fmac_f16_e32 v66, v45, v4
	v_fma_f16 v4, v55, v4, -v38
	v_fmac_f16_e32 v67, v35, v5
	v_fmac_f16_e32 v70, v36, v20
	;; [unrolled: 1-line block ×3, first 2 shown]
	v_fma_f16 v15, v41, v21, -v59
	v_fma_f16 v5, v42, v5, -v39
	v_fmac_f16_e32 v68, v34, v6
	v_fma_f16 v6, v44, v6, -v40
	v_fmac_f16_e32 v69, v43, v7
	v_fma_f16 v7, v53, v7, -v57
	v_fma_f16 v20, v51, v20, -v58
	v_fmac_f16_e32 v72, v23, v8
	v_fma_f16 v8, v48, v8, -v60
	v_fmac_f16_e32 v73, v22, v9
	;; [unrolled: 2-line block ×6, first 2 shown]
	v_fma_f16 v11, v52, v11, -v63
	v_add_f16_e32 v22, v66, v71
	v_add_f16_e32 v23, v4, v15
	v_sub_f16_e32 v4, v4, v15
	v_add_f16_e32 v15, v67, v70
	v_add_f16_e32 v30, v5, v20
	v_sub_f16_e32 v31, v67, v70
	v_sub_f16_e32 v5, v5, v20
	v_add_f16_e32 v20, v68, v69
	v_add_f16_e32 v32, v6, v7
	v_sub_f16_e32 v33, v69, v68
	;; [unrolled: 4-line block ×3, first 2 shown]
	v_add_f16_e32 v21, v73, v76
	v_add_f16_e32 v36, v9, v14
	v_sub_f16_e32 v9, v9, v14
	v_add_f16_e32 v39, v10, v11
	v_sub_f16_e32 v10, v11, v10
	;; [unrolled: 2-line block ×3, first 2 shown]
	v_sub_f16_e32 v35, v72, v77
	v_sub_f16_e32 v38, v73, v76
	v_add_f16_e32 v14, v74, v75
	v_sub_f16_e32 v40, v75, v74
	v_add_f16_e32 v41, v30, v23
	v_sub_f16_e32 v42, v15, v22
	v_sub_f16_e32 v43, v30, v23
	;; [unrolled: 1-line block ×6, first 2 shown]
	v_add_f16_e32 v44, v33, v31
	v_add_f16_e32 v45, v6, v5
	v_sub_f16_e32 v48, v33, v31
	v_sub_f16_e32 v49, v6, v5
	;; [unrolled: 1-line block ×3, first 2 shown]
	v_add_f16_e32 v50, v21, v7
	v_add_f16_e32 v51, v36, v34
	;; [unrolled: 1-line block ×3, first 2 shown]
	v_sub_f16_e32 v57, v10, v9
	v_sub_f16_e32 v9, v9, v8
	v_add_f16_e32 v11, v20, v11
	v_sub_f16_e32 v31, v31, v29
	v_sub_f16_e32 v33, v29, v33
	;; [unrolled: 1-line block ×9, first 2 shown]
	v_add_f16_e32 v54, v40, v38
	v_sub_f16_e32 v56, v40, v38
	v_sub_f16_e32 v38, v38, v35
	v_add_f16_e32 v20, v32, v41
	v_add_f16_e32 v29, v44, v29
	;; [unrolled: 1-line block ×3, first 2 shown]
	v_mul_f16_e32 v22, 0x3a52, v22
	v_mul_f16_e32 v23, 0x3a52, v23
	;; [unrolled: 1-line block ×7, first 2 shown]
	v_add_f16_e32 v14, v14, v50
	v_add_f16_e32 v39, v39, v51
	v_sub_f16_e32 v10, v8, v10
	v_add_f16_e32 v8, v55, v8
	v_mul_f16_e32 v55, 0x3846, v57
	v_mul_f16_e32 v57, 0xbb00, v9
	v_add_f16_e32 v13, v13, v11
	v_mul_f16_e32 v48, 0xbb00, v31
	v_sub_f16_e32 v40, v35, v40
	v_add_f16_e32 v35, v54, v35
	v_mul_f16_e32 v7, 0x3a52, v7
	v_mul_f16_e32 v34, 0x3a52, v34
	;; [unrolled: 1-line block ×6, first 2 shown]
	v_add_f16_e32 v47, v47, v20
	v_fmamk_f16 v15, v15, 0x2b26, v22
	v_fmamk_f16 v30, v30, 0x2b26, v23
	v_fma_f16 v32, v42, 0x39e0, -v32
	v_fma_f16 v41, v43, 0x39e0, -v41
	;; [unrolled: 1-line block ×4, first 2 shown]
	v_fmamk_f16 v42, v33, 0xb574, v44
	v_fmamk_f16 v43, v6, 0xb574, v45
	v_fma_f16 v31, v31, 0xbb00, -v44
	v_fma_f16 v5, v5, 0xbb00, -v45
	;; [unrolled: 1-line block ×3, first 2 shown]
	v_add_f16_e32 v12, v12, v14
	v_add_f16_e32 v44, v46, v39
	v_fmamk_f16 v49, v10, 0xb574, v55
	v_fma_f16 v9, v9, 0xbb00, -v55
	v_fma_f16 v10, v10, 0x3574, -v57
	v_fmamk_f16 v11, v11, 0xbcab, v13
	v_fma_f16 v33, v33, 0x3574, -v48
	v_fmamk_f16 v21, v21, 0x2b26, v7
	v_fmamk_f16 v36, v36, 0x2b26, v34
	v_fma_f16 v45, v52, 0x39e0, -v50
	v_fma_f16 v46, v53, 0x39e0, -v51
	v_fma_f16 v7, v52, 0xb9e0, -v7
	v_fma_f16 v34, v53, 0xb9e0, -v34
	v_fmamk_f16 v48, v40, 0xb574, v54
	v_fma_f16 v38, v38, 0xbb00, -v54
	v_fma_f16 v40, v40, 0x3574, -v56
	v_fmamk_f16 v20, v20, 0xbcab, v47
	v_fmac_f16_e32 v43, 0xb70e, v4
	v_fmac_f16_e32 v5, 0xb70e, v4
	;; [unrolled: 1-line block ×3, first 2 shown]
	v_fmamk_f16 v4, v14, 0xbcab, v12
	v_fmamk_f16 v14, v39, 0xbcab, v44
	v_fmac_f16_e32 v49, 0xb70e, v8
	v_fmac_f16_e32 v9, 0xb70e, v8
	;; [unrolled: 1-line block ×3, first 2 shown]
	v_add_f16_e32 v8, v15, v11
	v_fmac_f16_e32 v42, 0xb70e, v29
	v_fmac_f16_e32 v31, 0xb70e, v29
	;; [unrolled: 1-line block ×3, first 2 shown]
	v_add_f16_e32 v29, v32, v11
	v_add_f16_e32 v11, v22, v11
	v_fmac_f16_e32 v38, 0xb70e, v35
	v_fmac_f16_e32 v40, 0xb70e, v35
	v_add_f16_e32 v15, v30, v20
	v_add_f16_e32 v30, v41, v20
	;; [unrolled: 1-line block ×10, first 2 shown]
	v_fmac_f16_e32 v48, 0xb70e, v35
	v_add_f16_e32 v35, v6, v11
	v_sub_f16_e32 v39, v29, v5
	v_sub_f16_e32 v34, v15, v42
	;; [unrolled: 1-line block ×3, first 2 shown]
	v_add_f16_e32 v41, v31, v30
	v_add_f16_e32 v5, v5, v29
	v_sub_f16_e32 v29, v30, v31
	v_sub_f16_e32 v6, v11, v6
	v_add_f16_e32 v30, v33, v20
	v_sub_f16_e32 v8, v8, v43
	v_add_f16_e32 v31, v42, v15
	v_add_f16_e32 v11, v49, v21
	;; [unrolled: 1-line block ×3, first 2 shown]
	v_sub_f16_e32 v42, v7, v40
	v_sub_f16_e32 v20, v23, v9
	v_add_f16_e32 v43, v38, v32
	v_add_f16_e32 v9, v9, v23
	v_sub_f16_e32 v23, v32, v38
	v_sub_f16_e32 v4, v4, v10
	v_add_f16_e32 v32, v40, v7
	v_sub_f16_e32 v7, v21, v49
	ds_store_b16 v37, v13
	ds_store_b16 v37, v14 offset:44
	ds_store_b16 v37, v35 offset:88
	;; [unrolled: 1-line block ×6, first 2 shown]
	ds_store_b16 v28, v12
	ds_store_b16 v28, v11 offset:44
	ds_store_b16 v28, v15 offset:88
	;; [unrolled: 1-line block ×6, first 2 shown]
	global_wb scope:SCOPE_SE
	s_wait_dscnt 0x0
	s_barrier_signal -1
	s_barrier_wait -1
	global_inv scope:SCOPE_SE
	ds_load_u16 v14, v27 offset:1848
	ds_load_u16 v12, v0
	ds_load_u16 v13, v1
	;; [unrolled: 1-line block ×4, first 2 shown]
	ds_load_u16 v7, v27 offset:462
	ds_load_u16 v6, v27 offset:770
	;; [unrolled: 1-line block ×7, first 2 shown]
	ds_load_u16 v21, v3
	ds_load_u16 v11, v27 offset:2002
	v_sub_f16_e32 v33, v22, v48
	v_add_f16_e32 v22, v48, v22
	global_wb scope:SCOPE_SE
	s_wait_dscnt 0x0
	s_barrier_signal -1
	s_barrier_wait -1
	global_inv scope:SCOPE_SE
	ds_store_b16 v37, v47
	ds_store_b16 v37, v34 offset:44
	ds_store_b16 v37, v36 offset:88
	;; [unrolled: 1-line block ×6, first 2 shown]
	ds_store_b16 v28, v44
	ds_store_b16 v28, v33 offset:44
	ds_store_b16 v28, v42 offset:88
	;; [unrolled: 1-line block ×6, first 2 shown]
	global_wb scope:SCOPE_SE
	s_wait_dscnt 0x0
	s_barrier_signal -1
	s_barrier_wait -1
	global_inv scope:SCOPE_SE
	s_and_saveexec_b32 s0, vcc_lo
	s_cbranch_execz .LBB0_22
; %bb.21:
	v_mul_u32_u24_e32 v22, 6, v24
	v_mul_hi_u32 v39, 0x3531dec1, v24
	v_mul_lo_u32 v38, s2, v19
	v_add_nc_u32_e32 v40, 0x4d, v24
	s_delay_alu instid0(VALU_DEP_4)
	v_lshlrev_b32_e32 v23, 2, v22
	v_mul_i32_i24_e32 v22, 6, v25
	v_mul_lo_u32 v25, s3, v18
	v_mad_co_u64_u32 v[18:19], null, s2, v18, 0
	s_clause 0x1
	global_load_b128 v[28:31], v23, s[8:9] offset:608
	global_load_b64 v[36:37], v23, s[8:9] offset:624
	v_mov_b32_e32 v23, 0
	v_lshrrev_b32_e32 v39, 5, v39
	v_add3_u32 v19, v19, v38, v25
	s_delay_alu instid0(VALU_DEP_3) | instskip(NEXT) | instid1(VALU_DEP_3)
	v_lshlrev_b64_e32 v[22:23], 2, v[22:23]
	v_mul_lo_u32 v25, 0x9a, v39
	s_delay_alu instid0(VALU_DEP_2) | instskip(SKIP_1) | instid1(VALU_DEP_3)
	v_add_co_u32 v22, vcc_lo, s8, v22
	s_wait_alu 0xfffd
	v_add_co_ci_u32_e32 v23, vcc_lo, s9, v23, vcc_lo
	s_delay_alu instid0(VALU_DEP_3)
	v_sub_nc_u32_e32 v43, v24, v25
	s_clause 0x1
	global_load_b128 v[32:35], v[22:23], off offset:608
	global_load_b64 v[22:23], v[22:23], off offset:624
	ds_load_u16 v52, v27 offset:1694
	ds_load_u16 v53, v27 offset:1540
	;; [unrolled: 1-line block ×6, first 2 shown]
	ds_load_u16 v58, v3
	v_mul_hi_u32 v3, 0x3531dec1, v40
	ds_load_u16 v59, v2
	ds_load_u16 v60, v1
	;; [unrolled: 1-line block ×3, first 2 shown]
	v_lshlrev_b64_e32 v[0:1], 2, v[18:19]
	v_add_nc_u32_e32 v45, 0x9a, v43
	v_add_nc_u32_e32 v47, 0x134, v43
	;; [unrolled: 1-line block ×4, first 2 shown]
	ds_load_u16 v62, v27 offset:2002
	ds_load_u16 v63, v27 offset:1848
	v_lshrrev_b32_e32 v42, 5, v3
	v_lshlrev_b64_e32 v[2:3], 2, v[16:17]
	v_add_co_u32 v0, vcc_lo, s6, v0
	s_wait_alu 0xfffd
	v_add_co_ci_u32_e32 v1, vcc_lo, s7, v1, vcc_lo
	v_mul_lo_u32 v16, 0x9a, v42
	s_delay_alu instid0(VALU_DEP_3) | instskip(SKIP_1) | instid1(VALU_DEP_3)
	v_add_co_u32 v66, vcc_lo, v0, v2
	s_wait_alu 0xfffd
	v_add_co_ci_u32_e32 v67, vcc_lo, v1, v3, vcc_lo
	v_mad_co_u64_u32 v[0:1], null, s16, v43, 0
	v_mad_co_u64_u32 v[18:19], null, s16, v47, 0
	v_sub_nc_u32_e32 v2, v40, v16
	v_mad_co_u64_u32 v[16:17], null, s16, v45, 0
	v_add_nc_u32_e32 v48, 0x1ce, v43
	v_add_nc_u32_e32 v50, 0x302, v43
	s_delay_alu instid0(VALU_DEP_4)
	v_mad_co_u64_u32 v[2:3], null, 0x436, v42, v[2:3]
	v_mov_b32_e32 v3, v19
	ds_load_u16 v64, v27 offset:462
	ds_load_u16 v65, v26
	v_mad_co_u64_u32 v[26:27], null, s16, v49, 0
	v_mad_co_u64_u32 v[38:39], null, s16, v50, 0
	;; [unrolled: 1-line block ×3, first 2 shown]
	v_mov_b32_e32 v1, v17
	v_mad_co_u64_u32 v[24:25], null, s16, v48, 0
	v_mad_co_u64_u32 v[40:41], null, s16, v51, 0
	v_mov_b32_e32 v19, v27
	v_mad_co_u64_u32 v[43:44], null, s16, v2, 0
	s_delay_alu instid0(VALU_DEP_4)
	v_dual_mov_b32 v17, v25 :: v_dual_add_nc_u32 v68, 0x9a, v2
	v_mov_b32_e32 v25, v39
	v_mov_b32_e32 v27, v41
	v_mad_co_u64_u32 v[45:46], null, s17, v45, v[1:2]
	v_mad_co_u64_u32 v[46:47], null, s17, v47, v[3:4]
	;; [unrolled: 1-line block ×5, first 2 shown]
	v_mov_b32_e32 v1, v42
	v_mov_b32_e32 v3, v44
	;; [unrolled: 1-line block ×5, first 2 shown]
	v_lshlrev_b64_e32 v[0:1], 2, v[0:1]
	v_mad_co_u64_u32 v[44:45], null, s17, v2, v[3:4]
	v_mov_b32_e32 v39, v49
	v_lshlrev_b64_e32 v[16:17], 2, v[16:17]
	v_lshlrev_b64_e32 v[18:19], 2, v[18:19]
	v_add_co_u32 v0, vcc_lo, v66, v0
	s_wait_alu 0xfffd
	v_add_co_ci_u32_e32 v1, vcc_lo, v67, v1, vcc_lo
	v_lshlrev_b64_e32 v[24:25], 2, v[24:25]
	v_add_co_u32 v16, vcc_lo, v66, v16
	s_wait_alu 0xfffd
	v_add_co_ci_u32_e32 v17, vcc_lo, v67, v17, vcc_lo
	v_add_co_u32 v18, vcc_lo, v66, v18
	s_wait_alu 0xfffd
	v_add_co_ci_u32_e32 v19, vcc_lo, v67, v19, vcc_lo
	v_lshlrev_b64_e32 v[38:39], 2, v[38:39]
	v_add_co_u32 v24, vcc_lo, v66, v24
	s_wait_alu 0xfffd
	v_add_co_ci_u32_e32 v25, vcc_lo, v67, v25, vcc_lo
	s_wait_loadcnt 0x3
	v_mad_co_u64_u32 v[41:42], null, s17, v51, v[27:28]
	v_mad_co_u64_u32 v[50:51], null, s16, v68, 0
	v_mov_b32_e32 v27, v48
	v_lshlrev_b64_e32 v[42:43], 2, v[43:44]
	v_lshrrev_b32_e32 v44, 16, v29
	v_lshrrev_b32_e32 v47, 16, v31
	v_mul_f16_e32 v48, v21, v28
	s_wait_loadcnt 0x2
	v_lshrrev_b32_e32 v49, 16, v36
	v_mov_b32_e32 v3, v51
	v_lshrrev_b32_e32 v51, 16, v37
	v_mul_f16_e32 v69, v20, v31
	v_mul_f16_e32 v70, v13, v30
	;; [unrolled: 1-line block ×3, first 2 shown]
	v_mad_co_u64_u32 v[45:46], null, s17, v68, v[3:4]
	v_lshrrev_b32_e32 v3, 16, v28
	v_lshrrev_b32_e32 v46, 16, v30
	v_mul_f16_e32 v68, v14, v37
	v_mul_f16_e32 v72, v15, v36
	s_wait_dscnt 0xa
	v_fmac_f16_e32 v69, v55, v47
	s_wait_dscnt 0x7
	v_fmac_f16_e32 v48, v58, v3
	;; [unrolled: 2-line block ×4, first 2 shown]
	v_fmac_f16_e32 v71, v61, v44
	v_fmac_f16_e32 v72, v53, v49
	v_mul_f16_e32 v14, v14, v51
	v_mul_f16_e32 v3, v21, v3
	;; [unrolled: 1-line block ×6, first 2 shown]
	s_wait_loadcnt 0x1
	v_lshrrev_b32_e32 v21, 16, v32
	v_lshrrev_b32_e32 v44, 16, v33
	;; [unrolled: 1-line block ×4, first 2 shown]
	s_wait_loadcnt 0x0
	v_lshrrev_b32_e32 v51, 16, v22
	v_lshrrev_b32_e32 v73, 16, v23
	v_mul_f16_e32 v49, v7, v32
	v_mul_f16_e32 v74, v11, v23
	;; [unrolled: 1-line block ×6, first 2 shown]
	v_sub_f16_e32 v79, v48, v68
	v_sub_f16_e32 v80, v69, v70
	;; [unrolled: 1-line block ×3, first 2 shown]
	v_fma_f16 v14, v63, v37, -v14
	v_fma_f16 v3, v58, v28, -v3
	;; [unrolled: 1-line block ×6, first 2 shown]
	v_add_f16_e32 v28, v48, v68
	v_add_f16_e32 v29, v69, v70
	;; [unrolled: 1-line block ×3, first 2 shown]
	v_mul_f16_e32 v11, v11, v73
	v_mul_f16_e32 v7, v7, v21
	;; [unrolled: 1-line block ×6, first 2 shown]
	s_wait_dscnt 0x1
	v_fmac_f16_e32 v49, v64, v21
	v_fmac_f16_e32 v74, v62, v73
	;; [unrolled: 1-line block ×6, first 2 shown]
	v_sub_f16_e32 v31, v80, v81
	v_add_f16_e32 v36, v80, v81
	v_add_f16_e32 v37, v3, v14
	v_add_f16_e32 v44, v20, v13
	v_add_f16_e32 v46, v12, v15
	v_sub_f16_e32 v47, v28, v29
	v_sub_f16_e32 v48, v29, v30
	v_add_f16_e32 v51, v28, v30
	v_sub_f16_e32 v3, v3, v14
	v_sub_f16_e32 v13, v20, v13
	;; [unrolled: 1-line block ×4, first 2 shown]
	v_fma_f16 v11, v62, v23, -v11
	v_fma_f16 v7, v64, v32, -v7
	v_fma_f16 v10, v56, v34, -v10
	v_fma_f16 v9, v54, v35, -v9
	v_fma_f16 v8, v52, v22, -v8
	v_fma_f16 v6, v57, v33, -v6
	v_sub_f16_e32 v21, v79, v80
	v_sub_f16_e32 v15, v30, v28
	v_sub_f16_e32 v20, v49, v74
	v_sub_f16_e32 v28, v75, v76
	v_sub_f16_e32 v30, v77, v78
	v_add_f16_e32 v22, v49, v74
	v_add_f16_e32 v23, v75, v76
	;; [unrolled: 1-line block ×3, first 2 shown]
	v_mul_f16_e32 v31, 0x3846, v31
	v_add_f16_e32 v33, v79, v36
	v_sub_f16_e32 v34, v37, v44
	v_sub_f16_e32 v35, v44, v46
	v_add_f16_e32 v36, v37, v46
	v_mul_f16_e32 v49, 0x3a52, v47
	v_mul_f16_e32 v48, 0x2b26, v48
	v_add_f16_e32 v29, v29, v51
	v_sub_f16_e32 v51, v3, v13
	v_sub_f16_e32 v52, v13, v12
	v_add_f16_e32 v13, v13, v12
	v_mul_f16_e32 v53, 0xbb00, v14
	v_sub_f16_e32 v12, v12, v3
	v_add_f16_e32 v55, v7, v11
	v_add_f16_e32 v56, v9, v10
	;; [unrolled: 1-line block ×3, first 2 shown]
	v_sub_f16_e32 v37, v46, v37
	v_sub_f16_e32 v46, v20, v28
	v_sub_f16_e32 v54, v28, v30
	v_add_f16_e32 v28, v28, v30
	v_sub_f16_e32 v58, v22, v23
	v_sub_f16_e32 v60, v23, v32
	v_add_f16_e32 v61, v22, v32
	v_sub_f16_e32 v7, v7, v11
	v_sub_f16_e32 v9, v9, v10
	;; [unrolled: 1-line block ×5, first 2 shown]
	v_fmamk_f16 v11, v21, 0xb574, v31
	v_mul_f16_e32 v22, 0x3a52, v34
	v_mul_f16_e32 v30, 0x2b26, v35
	v_add_f16_e32 v32, v44, v36
	v_fmamk_f16 v35, v47, 0x3a52, v48
	v_add_f16_e32 v5, v5, v29
	v_mul_f16_e32 v36, 0x3846, v52
	v_add_f16_e32 v3, v3, v13
	v_fma_f16 v13, v21, 0x3574, -v53
	v_fma_f16 v21, v15, 0xb9e0, -v49
	v_mul_f16_e32 v44, 0xbb00, v12
	v_fma_f16 v15, v15, 0x39e0, -v48
	v_sub_f16_e32 v47, v56, v57
	v_add_f16_e32 v48, v55, v57
	v_fma_f16 v14, v14, 0xbb00, -v31
	v_mul_f16_e32 v31, 0x3846, v54
	v_add_f16_e32 v20, v20, v28
	v_sub_f16_e32 v28, v55, v56
	v_mul_f16_e32 v49, 0x3a52, v58
	v_mul_f16_e32 v52, 0x2b26, v60
	v_add_f16_e32 v23, v23, v61
	v_sub_f16_e32 v53, v7, v9
	v_sub_f16_e32 v54, v9, v6
	v_add_f16_e32 v9, v9, v6
	v_mul_f16_e32 v60, 0xbb00, v8
	v_sub_f16_e32 v55, v57, v55
	v_sub_f16_e32 v6, v6, v7
	v_fmamk_f16 v34, v34, 0x3a52, v30
	s_wait_dscnt 0x0
	v_add_f16_e32 v57, v65, v32
	v_fmamk_f16 v29, v29, 0xbcab, v5
	v_fmamk_f16 v61, v51, 0xb574, v36
	v_fma_f16 v22, v37, 0xb9e0, -v22
	v_fma_f16 v44, v51, 0x3574, -v44
	;; [unrolled: 1-line block ×4, first 2 shown]
	v_mul_f16_e32 v37, 0x2b26, v47
	v_add_f16_e32 v47, v56, v48
	v_lshlrev_b64_e32 v[26:27], 2, v[26:27]
	v_fmac_f16_e32 v11, 0xb70e, v33
	v_fmac_f16_e32 v13, 0xb70e, v33
	;; [unrolled: 1-line block ×3, first 2 shown]
	v_fmamk_f16 v33, v46, 0xb574, v31
	v_mul_f16_e32 v36, 0x3a52, v28
	v_add_f16_e32 v4, v4, v23
	v_mul_f16_e32 v51, 0x3846, v54
	v_add_f16_e32 v7, v7, v9
	v_fma_f16 v9, v46, 0x3574, -v60
	v_fma_f16 v46, v10, 0xb9e0, -v49
	v_mul_f16_e32 v49, 0xbb00, v6
	v_fma_f16 v8, v8, 0xbb00, -v31
	v_fmamk_f16 v31, v32, 0xbcab, v57
	v_fmac_f16_e32 v61, 0xb70e, v3
	v_fmac_f16_e32 v44, 0xb70e, v3
	;; [unrolled: 1-line block ×3, first 2 shown]
	v_add_f16_e32 v3, v15, v29
	v_pack_b32_f16 v5, v5, v57
	v_fmamk_f16 v15, v28, 0x3a52, v37
	v_add_f16_e32 v28, v59, v47
	v_lshlrev_b64_e32 v[40:41], 2, v[40:41]
	v_add_co_u32 v26, vcc_lo, v66, v26
	v_fmamk_f16 v48, v58, 0x3a52, v52
	v_fma_f16 v10, v10, 0x39e0, -v52
	v_add_f16_e32 v32, v35, v29
	v_add_f16_e32 v21, v21, v29
	v_fmac_f16_e32 v33, 0xb70e, v20
	v_fmamk_f16 v23, v23, 0xbcab, v4
	v_fmamk_f16 v29, v53, 0xb574, v51
	v_fmac_f16_e32 v9, 0xb70e, v20
	v_fma_f16 v35, v55, 0xb9e0, -v36
	v_fma_f16 v36, v53, 0x3574, -v49
	v_fmac_f16_e32 v8, 0xb70e, v20
	v_fma_f16 v6, v6, 0xbb00, -v51
	v_add_f16_e32 v20, v34, v31
	v_add_f16_e32 v22, v22, v31
	global_store_b32 v[0:1], v5, off
	v_fmamk_f16 v0, v47, 0xbcab, v28
	s_wait_alu 0xfffd
	v_add_co_ci_u32_e32 v27, vcc_lo, v67, v27, vcc_lo
	v_add_co_u32 v38, vcc_lo, v66, v38
	v_add_f16_e32 v30, v30, v31
	s_wait_alu 0xfffd
	v_add_co_ci_u32_e32 v39, vcc_lo, v67, v39, vcc_lo
	v_add_co_u32 v40, vcc_lo, v66, v40
	v_sub_f16_e32 v34, v32, v61
	v_sub_f16_e32 v49, v21, v44
	v_add_f16_e32 v31, v12, v3
	v_sub_f16_e32 v3, v3, v12
	v_add_f16_e32 v12, v44, v21
	v_add_f16_e32 v21, v61, v32
	;; [unrolled: 1-line block ×3, first 2 shown]
	v_fmac_f16_e32 v29, 0xb70e, v7
	v_add_f16_e32 v5, v46, v23
	v_fmac_f16_e32 v36, 0xb70e, v7
	v_fmac_f16_e32 v6, 0xb70e, v7
	v_add_f16_e32 v7, v10, v23
	v_add_f16_e32 v10, v11, v20
	;; [unrolled: 1-line block ×3, first 2 shown]
	v_sub_f16_e32 v13, v22, v13
	v_sub_f16_e32 v11, v20, v11
	v_add_f16_e32 v22, v35, v0
	s_wait_alu 0xfffd
	v_add_co_ci_u32_e32 v41, vcc_lo, v67, v41, vcc_lo
	v_pack_b32_f16 v4, v4, v28
	v_sub_f16_e32 v28, v30, v14
	v_add_f16_e32 v14, v14, v30
	v_add_co_u32 v42, vcc_lo, v66, v42
	v_fma_f16 v37, v55, 0x39e0, -v37
	s_wait_alu 0xfffd
	v_add_co_ci_u32_e32 v43, vcc_lo, v67, v43, vcc_lo
	v_sub_f16_e32 v20, v1, v29
	v_sub_f16_e32 v30, v5, v36
	v_add_f16_e32 v32, v6, v7
	v_sub_f16_e32 v35, v7, v6
	v_add_f16_e32 v36, v36, v5
	v_add_f16_e32 v29, v29, v1
	v_pack_b32_f16 v1, v21, v11
	v_pack_b32_f16 v5, v12, v13
	;; [unrolled: 1-line block ×4, first 2 shown]
	v_add_f16_e32 v23, v9, v22
	v_sub_f16_e32 v13, v22, v9
	v_add_nc_u32_e32 v9, 0x134, v2
	v_add_nc_u32_e32 v12, 0x1ce, v2
	v_pack_b32_f16 v3, v3, v14
	v_add_f16_e32 v15, v15, v0
	v_add_f16_e32 v0, v37, v0
	v_pack_b32_f16 v6, v31, v28
	v_add_nc_u32_e32 v14, 0x268, v2
	s_clause 0x6
	global_store_b32 v[16:17], v1, off
	global_store_b32 v[18:19], v5, off
	;; [unrolled: 1-line block ×7, first 2 shown]
	v_mad_co_u64_u32 v[3:4], null, s16, v9, 0
	v_mad_co_u64_u32 v[5:6], null, s16, v12, 0
	v_sub_f16_e32 v28, v0, v8
	v_add_f16_e32 v31, v8, v0
	v_mov_b32_e32 v51, v45
	v_mad_co_u64_u32 v[7:8], null, s16, v14, 0
	v_sub_f16_e32 v11, v15, v33
	v_mad_co_u64_u32 v[9:10], null, s17, v9, v[4:5]
	s_delay_alu instid0(VALU_DEP_4) | instskip(SKIP_1) | instid1(VALU_DEP_4)
	v_lshlrev_b64_e32 v[0:1], 2, v[50:51]
	v_add_f16_e32 v21, v33, v15
	v_pack_b32_f16 v15, v29, v11
	v_add_nc_u32_e32 v16, 0x302, v2
	v_mad_co_u64_u32 v[10:11], null, s17, v12, v[6:7]
	v_mov_b32_e32 v6, v8
	v_add_co_u32 v0, vcc_lo, v66, v0
	s_wait_alu 0xfffd
	v_add_co_ci_u32_e32 v1, vcc_lo, v67, v1, vcc_lo
	v_mad_co_u64_u32 v[11:12], null, s16, v16, 0
	v_mov_b32_e32 v4, v9
	v_mad_co_u64_u32 v[8:9], null, s17, v14, v[6:7]
	v_add_nc_u32_e32 v14, 0x39c, v2
	global_store_b32 v[0:1], v15, off
	v_lshlrev_b64_e32 v[0:1], 2, v[3:4]
	v_mov_b32_e32 v2, v12
	v_mov_b32_e32 v6, v10
	v_mad_co_u64_u32 v[3:4], null, s16, v14, 0
	v_pack_b32_f16 v15, v36, v13
	v_add_co_u32 v0, vcc_lo, v66, v0
	s_wait_alu 0xfffd
	v_add_co_ci_u32_e32 v1, vcc_lo, v67, v1, vcc_lo
	s_delay_alu instid0(VALU_DEP_4) | instskip(SKIP_3) | instid1(VALU_DEP_3)
	v_mad_co_u64_u32 v[9:10], null, s17, v16, v[2:3]
	v_mov_b32_e32 v2, v4
	v_lshlrev_b64_e32 v[4:5], 2, v[5:6]
	v_lshlrev_b64_e32 v[6:7], 2, v[7:8]
	v_mad_co_u64_u32 v[13:14], null, s17, v14, v[2:3]
	v_mov_b32_e32 v12, v9
	s_delay_alu instid0(VALU_DEP_4) | instskip(SKIP_2) | instid1(VALU_DEP_3)
	v_add_co_u32 v8, vcc_lo, v66, v4
	s_wait_alu 0xfffd
	v_add_co_ci_u32_e32 v9, vcc_lo, v67, v5, vcc_lo
	v_lshlrev_b64_e32 v[10:11], 2, v[11:12]
	v_mov_b32_e32 v4, v13
	v_add_co_u32 v5, vcc_lo, v66, v6
	s_wait_alu 0xfffd
	v_add_co_ci_u32_e32 v6, vcc_lo, v67, v7, vcc_lo
	s_delay_alu instid0(VALU_DEP_3)
	v_lshlrev_b64_e32 v[2:3], 2, v[3:4]
	v_add_co_u32 v10, vcc_lo, v66, v10
	v_pack_b32_f16 v14, v35, v31
	s_wait_alu 0xfffd
	v_add_co_ci_u32_e32 v11, vcc_lo, v67, v11, vcc_lo
	v_pack_b32_f16 v7, v32, v28
	v_add_co_u32 v2, vcc_lo, v66, v2
	v_pack_b32_f16 v4, v30, v23
	s_wait_alu 0xfffd
	v_add_co_ci_u32_e32 v3, vcc_lo, v67, v3, vcc_lo
	v_pack_b32_f16 v12, v20, v21
	s_clause 0x4
	global_store_b32 v[0:1], v15, off
	global_store_b32 v[8:9], v14, off
	global_store_b32 v[5:6], v7, off
	global_store_b32 v[10:11], v4, off
	global_store_b32 v[2:3], v12, off
.LBB0_22:
	s_nop 0
	s_sendmsg sendmsg(MSG_DEALLOC_VGPRS)
	s_endpgm
	.section	.rodata,"a",@progbits
	.p2align	6, 0x0
	.amdhsa_kernel fft_rtc_back_len1078_factors_2_11_7_7_wgs_231_tpt_77_halfLds_half_op_CI_CI_sbrr_dirReg
		.amdhsa_group_segment_fixed_size 0
		.amdhsa_private_segment_fixed_size 0
		.amdhsa_kernarg_size 104
		.amdhsa_user_sgpr_count 2
		.amdhsa_user_sgpr_dispatch_ptr 0
		.amdhsa_user_sgpr_queue_ptr 0
		.amdhsa_user_sgpr_kernarg_segment_ptr 1
		.amdhsa_user_sgpr_dispatch_id 0
		.amdhsa_user_sgpr_private_segment_size 0
		.amdhsa_wavefront_size32 1
		.amdhsa_uses_dynamic_stack 0
		.amdhsa_enable_private_segment 0
		.amdhsa_system_sgpr_workgroup_id_x 1
		.amdhsa_system_sgpr_workgroup_id_y 0
		.amdhsa_system_sgpr_workgroup_id_z 0
		.amdhsa_system_sgpr_workgroup_info 0
		.amdhsa_system_vgpr_workitem_id 0
		.amdhsa_next_free_vgpr 120
		.amdhsa_next_free_sgpr 43
		.amdhsa_reserve_vcc 1
		.amdhsa_float_round_mode_32 0
		.amdhsa_float_round_mode_16_64 0
		.amdhsa_float_denorm_mode_32 3
		.amdhsa_float_denorm_mode_16_64 3
		.amdhsa_fp16_overflow 0
		.amdhsa_workgroup_processor_mode 1
		.amdhsa_memory_ordered 1
		.amdhsa_forward_progress 0
		.amdhsa_round_robin_scheduling 0
		.amdhsa_exception_fp_ieee_invalid_op 0
		.amdhsa_exception_fp_denorm_src 0
		.amdhsa_exception_fp_ieee_div_zero 0
		.amdhsa_exception_fp_ieee_overflow 0
		.amdhsa_exception_fp_ieee_underflow 0
		.amdhsa_exception_fp_ieee_inexact 0
		.amdhsa_exception_int_div_zero 0
	.end_amdhsa_kernel
	.text
.Lfunc_end0:
	.size	fft_rtc_back_len1078_factors_2_11_7_7_wgs_231_tpt_77_halfLds_half_op_CI_CI_sbrr_dirReg, .Lfunc_end0-fft_rtc_back_len1078_factors_2_11_7_7_wgs_231_tpt_77_halfLds_half_op_CI_CI_sbrr_dirReg
                                        ; -- End function
	.section	.AMDGPU.csdata,"",@progbits
; Kernel info:
; codeLenInByte = 13460
; NumSgprs: 45
; NumVgprs: 120
; ScratchSize: 0
; MemoryBound: 0
; FloatMode: 240
; IeeeMode: 1
; LDSByteSize: 0 bytes/workgroup (compile time only)
; SGPRBlocks: 5
; VGPRBlocks: 14
; NumSGPRsForWavesPerEU: 45
; NumVGPRsForWavesPerEU: 120
; Occupancy: 12
; WaveLimiterHint : 1
; COMPUTE_PGM_RSRC2:SCRATCH_EN: 0
; COMPUTE_PGM_RSRC2:USER_SGPR: 2
; COMPUTE_PGM_RSRC2:TRAP_HANDLER: 0
; COMPUTE_PGM_RSRC2:TGID_X_EN: 1
; COMPUTE_PGM_RSRC2:TGID_Y_EN: 0
; COMPUTE_PGM_RSRC2:TGID_Z_EN: 0
; COMPUTE_PGM_RSRC2:TIDIG_COMP_CNT: 0
	.text
	.p2alignl 7, 3214868480
	.fill 96, 4, 3214868480
	.type	__hip_cuid_62e2deb4c25e146,@object ; @__hip_cuid_62e2deb4c25e146
	.section	.bss,"aw",@nobits
	.globl	__hip_cuid_62e2deb4c25e146
__hip_cuid_62e2deb4c25e146:
	.byte	0                               ; 0x0
	.size	__hip_cuid_62e2deb4c25e146, 1

	.ident	"AMD clang version 19.0.0git (https://github.com/RadeonOpenCompute/llvm-project roc-6.4.0 25133 c7fe45cf4b819c5991fe208aaa96edf142730f1d)"
	.section	".note.GNU-stack","",@progbits
	.addrsig
	.addrsig_sym __hip_cuid_62e2deb4c25e146
	.amdgpu_metadata
---
amdhsa.kernels:
  - .args:
      - .actual_access:  read_only
        .address_space:  global
        .offset:         0
        .size:           8
        .value_kind:     global_buffer
      - .offset:         8
        .size:           8
        .value_kind:     by_value
      - .actual_access:  read_only
        .address_space:  global
        .offset:         16
        .size:           8
        .value_kind:     global_buffer
      - .actual_access:  read_only
        .address_space:  global
        .offset:         24
        .size:           8
        .value_kind:     global_buffer
      - .actual_access:  read_only
        .address_space:  global
        .offset:         32
        .size:           8
        .value_kind:     global_buffer
      - .offset:         40
        .size:           8
        .value_kind:     by_value
      - .actual_access:  read_only
        .address_space:  global
        .offset:         48
        .size:           8
        .value_kind:     global_buffer
      - .actual_access:  read_only
        .address_space:  global
        .offset:         56
        .size:           8
        .value_kind:     global_buffer
      - .offset:         64
        .size:           4
        .value_kind:     by_value
      - .actual_access:  read_only
        .address_space:  global
        .offset:         72
        .size:           8
        .value_kind:     global_buffer
      - .actual_access:  read_only
        .address_space:  global
        .offset:         80
        .size:           8
        .value_kind:     global_buffer
      - .actual_access:  read_only
        .address_space:  global
        .offset:         88
        .size:           8
        .value_kind:     global_buffer
      - .actual_access:  write_only
        .address_space:  global
        .offset:         96
        .size:           8
        .value_kind:     global_buffer
    .group_segment_fixed_size: 0
    .kernarg_segment_align: 8
    .kernarg_segment_size: 104
    .language:       OpenCL C
    .language_version:
      - 2
      - 0
    .max_flat_workgroup_size: 231
    .name:           fft_rtc_back_len1078_factors_2_11_7_7_wgs_231_tpt_77_halfLds_half_op_CI_CI_sbrr_dirReg
    .private_segment_fixed_size: 0
    .sgpr_count:     45
    .sgpr_spill_count: 0
    .symbol:         fft_rtc_back_len1078_factors_2_11_7_7_wgs_231_tpt_77_halfLds_half_op_CI_CI_sbrr_dirReg.kd
    .uniform_work_group_size: 1
    .uses_dynamic_stack: false
    .vgpr_count:     120
    .vgpr_spill_count: 0
    .wavefront_size: 32
    .workgroup_processor_mode: 1
amdhsa.target:   amdgcn-amd-amdhsa--gfx1201
amdhsa.version:
  - 1
  - 2
...

	.end_amdgpu_metadata
